;; amdgpu-corpus repo=ROCm/rocFFT kind=compiled arch=gfx1201 opt=O3
	.text
	.amdgcn_target "amdgcn-amd-amdhsa--gfx1201"
	.amdhsa_code_object_version 6
	.protected	fft_rtc_fwd_len1352_factors_2_13_13_4_wgs_52_tpt_52_halfLds_sp_ip_CI_unitstride_sbrr_dirReg ; -- Begin function fft_rtc_fwd_len1352_factors_2_13_13_4_wgs_52_tpt_52_halfLds_sp_ip_CI_unitstride_sbrr_dirReg
	.globl	fft_rtc_fwd_len1352_factors_2_13_13_4_wgs_52_tpt_52_halfLds_sp_ip_CI_unitstride_sbrr_dirReg
	.p2align	8
	.type	fft_rtc_fwd_len1352_factors_2_13_13_4_wgs_52_tpt_52_halfLds_sp_ip_CI_unitstride_sbrr_dirReg,@function
fft_rtc_fwd_len1352_factors_2_13_13_4_wgs_52_tpt_52_halfLds_sp_ip_CI_unitstride_sbrr_dirReg: ; @fft_rtc_fwd_len1352_factors_2_13_13_4_wgs_52_tpt_52_halfLds_sp_ip_CI_unitstride_sbrr_dirReg
; %bb.0:
	s_clause 0x2
	s_load_b128 s[4:7], s[0:1], 0x0
	s_load_b64 s[8:9], s[0:1], 0x50
	s_load_b64 s[10:11], s[0:1], 0x18
	v_mul_u32_u24_e32 v1, 0x4ed, v0
	v_mov_b32_e32 v3, 0
	s_delay_alu instid0(VALU_DEP_2) | instskip(NEXT) | instid1(VALU_DEP_1)
	v_lshrrev_b32_e32 v1, 16, v1
	v_add_nc_u32_e32 v5, ttmp9, v1
	v_mov_b32_e32 v1, 0
	v_mov_b32_e32 v2, 0
	;; [unrolled: 1-line block ×3, first 2 shown]
	s_wait_kmcnt 0x0
	v_cmp_lt_u64_e64 s2, s[6:7], 2
	s_delay_alu instid0(VALU_DEP_1)
	s_and_b32 vcc_lo, exec_lo, s2
	s_cbranch_vccnz .LBB0_8
; %bb.1:
	s_load_b64 s[2:3], s[0:1], 0x10
	v_mov_b32_e32 v1, 0
	v_mov_b32_e32 v2, 0
	s_add_nc_u64 s[12:13], s[10:11], 8
	s_mov_b64 s[14:15], 1
	s_wait_kmcnt 0x0
	s_add_nc_u64 s[16:17], s[2:3], 8
	s_mov_b32 s3, 0
.LBB0_2:                                ; =>This Inner Loop Header: Depth=1
	s_load_b64 s[18:19], s[16:17], 0x0
                                        ; implicit-def: $vgpr19_vgpr20
	s_mov_b32 s2, exec_lo
	s_wait_kmcnt 0x0
	v_or_b32_e32 v4, s19, v6
	s_delay_alu instid0(VALU_DEP_1)
	v_cmpx_ne_u64_e32 0, v[3:4]
	s_wait_alu 0xfffe
	s_xor_b32 s20, exec_lo, s2
	s_cbranch_execz .LBB0_4
; %bb.3:                                ;   in Loop: Header=BB0_2 Depth=1
	s_cvt_f32_u32 s2, s18
	s_cvt_f32_u32 s21, s19
	s_sub_nc_u64 s[24:25], 0, s[18:19]
	s_wait_alu 0xfffe
	s_delay_alu instid0(SALU_CYCLE_1) | instskip(SKIP_1) | instid1(SALU_CYCLE_2)
	s_fmamk_f32 s2, s21, 0x4f800000, s2
	s_wait_alu 0xfffe
	v_s_rcp_f32 s2, s2
	s_delay_alu instid0(TRANS32_DEP_1) | instskip(SKIP_1) | instid1(SALU_CYCLE_2)
	s_mul_f32 s2, s2, 0x5f7ffffc
	s_wait_alu 0xfffe
	s_mul_f32 s21, s2, 0x2f800000
	s_wait_alu 0xfffe
	s_delay_alu instid0(SALU_CYCLE_2) | instskip(SKIP_1) | instid1(SALU_CYCLE_2)
	s_trunc_f32 s21, s21
	s_wait_alu 0xfffe
	s_fmamk_f32 s2, s21, 0xcf800000, s2
	s_cvt_u32_f32 s23, s21
	s_wait_alu 0xfffe
	s_delay_alu instid0(SALU_CYCLE_1) | instskip(SKIP_1) | instid1(SALU_CYCLE_2)
	s_cvt_u32_f32 s22, s2
	s_wait_alu 0xfffe
	s_mul_u64 s[26:27], s[24:25], s[22:23]
	s_wait_alu 0xfffe
	s_mul_hi_u32 s29, s22, s27
	s_mul_i32 s28, s22, s27
	s_mul_hi_u32 s2, s22, s26
	s_mul_i32 s30, s23, s26
	s_wait_alu 0xfffe
	s_add_nc_u64 s[28:29], s[2:3], s[28:29]
	s_mul_hi_u32 s21, s23, s26
	s_mul_hi_u32 s31, s23, s27
	s_add_co_u32 s2, s28, s30
	s_wait_alu 0xfffe
	s_add_co_ci_u32 s2, s29, s21
	s_mul_i32 s26, s23, s27
	s_add_co_ci_u32 s27, s31, 0
	s_wait_alu 0xfffe
	s_add_nc_u64 s[26:27], s[2:3], s[26:27]
	s_wait_alu 0xfffe
	v_add_co_u32 v4, s2, s22, s26
	s_delay_alu instid0(VALU_DEP_1) | instskip(SKIP_1) | instid1(VALU_DEP_1)
	s_cmp_lg_u32 s2, 0
	s_add_co_ci_u32 s23, s23, s27
	v_readfirstlane_b32 s22, v4
	s_wait_alu 0xfffe
	s_delay_alu instid0(VALU_DEP_1)
	s_mul_u64 s[24:25], s[24:25], s[22:23]
	s_wait_alu 0xfffe
	s_mul_hi_u32 s27, s22, s25
	s_mul_i32 s26, s22, s25
	s_mul_hi_u32 s2, s22, s24
	s_mul_i32 s28, s23, s24
	s_wait_alu 0xfffe
	s_add_nc_u64 s[26:27], s[2:3], s[26:27]
	s_mul_hi_u32 s21, s23, s24
	s_mul_hi_u32 s22, s23, s25
	s_wait_alu 0xfffe
	s_add_co_u32 s2, s26, s28
	s_add_co_ci_u32 s2, s27, s21
	s_mul_i32 s24, s23, s25
	s_add_co_ci_u32 s25, s22, 0
	s_wait_alu 0xfffe
	s_add_nc_u64 s[24:25], s[2:3], s[24:25]
	s_wait_alu 0xfffe
	v_add_co_u32 v4, s2, v4, s24
	s_delay_alu instid0(VALU_DEP_1) | instskip(SKIP_1) | instid1(VALU_DEP_1)
	s_cmp_lg_u32 s2, 0
	s_add_co_ci_u32 s2, s23, s25
	v_mul_hi_u32 v13, v5, v4
	s_wait_alu 0xfffe
	v_mad_co_u64_u32 v[7:8], null, v5, s2, 0
	v_mad_co_u64_u32 v[9:10], null, v6, v4, 0
	;; [unrolled: 1-line block ×3, first 2 shown]
	s_delay_alu instid0(VALU_DEP_3) | instskip(SKIP_1) | instid1(VALU_DEP_4)
	v_add_co_u32 v4, vcc_lo, v13, v7
	s_wait_alu 0xfffd
	v_add_co_ci_u32_e32 v7, vcc_lo, 0, v8, vcc_lo
	s_delay_alu instid0(VALU_DEP_2) | instskip(SKIP_1) | instid1(VALU_DEP_2)
	v_add_co_u32 v4, vcc_lo, v4, v9
	s_wait_alu 0xfffd
	v_add_co_ci_u32_e32 v4, vcc_lo, v7, v10, vcc_lo
	s_wait_alu 0xfffd
	v_add_co_ci_u32_e32 v7, vcc_lo, 0, v12, vcc_lo
	s_delay_alu instid0(VALU_DEP_2) | instskip(SKIP_1) | instid1(VALU_DEP_2)
	v_add_co_u32 v4, vcc_lo, v4, v11
	s_wait_alu 0xfffd
	v_add_co_ci_u32_e32 v9, vcc_lo, 0, v7, vcc_lo
	s_delay_alu instid0(VALU_DEP_2) | instskip(SKIP_1) | instid1(VALU_DEP_3)
	v_mul_lo_u32 v10, s19, v4
	v_mad_co_u64_u32 v[7:8], null, s18, v4, 0
	v_mul_lo_u32 v11, s18, v9
	s_delay_alu instid0(VALU_DEP_2) | instskip(NEXT) | instid1(VALU_DEP_2)
	v_sub_co_u32 v7, vcc_lo, v5, v7
	v_add3_u32 v8, v8, v11, v10
	s_delay_alu instid0(VALU_DEP_1) | instskip(SKIP_1) | instid1(VALU_DEP_1)
	v_sub_nc_u32_e32 v10, v6, v8
	s_wait_alu 0xfffd
	v_subrev_co_ci_u32_e64 v10, s2, s19, v10, vcc_lo
	v_add_co_u32 v11, s2, v4, 2
	s_wait_alu 0xf1ff
	v_add_co_ci_u32_e64 v12, s2, 0, v9, s2
	v_sub_co_u32 v13, s2, v7, s18
	v_sub_co_ci_u32_e32 v8, vcc_lo, v6, v8, vcc_lo
	s_wait_alu 0xf1ff
	v_subrev_co_ci_u32_e64 v10, s2, 0, v10, s2
	s_delay_alu instid0(VALU_DEP_3) | instskip(NEXT) | instid1(VALU_DEP_3)
	v_cmp_le_u32_e32 vcc_lo, s18, v13
	v_cmp_eq_u32_e64 s2, s19, v8
	s_wait_alu 0xfffd
	v_cndmask_b32_e64 v13, 0, -1, vcc_lo
	v_cmp_le_u32_e32 vcc_lo, s19, v10
	s_wait_alu 0xfffd
	v_cndmask_b32_e64 v14, 0, -1, vcc_lo
	v_cmp_le_u32_e32 vcc_lo, s18, v7
	;; [unrolled: 3-line block ×3, first 2 shown]
	s_wait_alu 0xfffd
	v_cndmask_b32_e64 v15, 0, -1, vcc_lo
	v_cmp_eq_u32_e32 vcc_lo, s19, v10
	s_wait_alu 0xf1ff
	s_delay_alu instid0(VALU_DEP_2)
	v_cndmask_b32_e64 v7, v15, v7, s2
	s_wait_alu 0xfffd
	v_cndmask_b32_e32 v10, v14, v13, vcc_lo
	v_add_co_u32 v13, vcc_lo, v4, 1
	s_wait_alu 0xfffd
	v_add_co_ci_u32_e32 v14, vcc_lo, 0, v9, vcc_lo
	s_delay_alu instid0(VALU_DEP_3) | instskip(SKIP_2) | instid1(VALU_DEP_3)
	v_cmp_ne_u32_e32 vcc_lo, 0, v10
	s_wait_alu 0xfffd
	v_cndmask_b32_e32 v10, v13, v11, vcc_lo
	v_cndmask_b32_e32 v8, v14, v12, vcc_lo
	v_cmp_ne_u32_e32 vcc_lo, 0, v7
	s_wait_alu 0xfffd
	s_delay_alu instid0(VALU_DEP_2)
	v_dual_cndmask_b32 v19, v4, v10 :: v_dual_cndmask_b32 v20, v9, v8
.LBB0_4:                                ;   in Loop: Header=BB0_2 Depth=1
	s_wait_alu 0xfffe
	s_and_not1_saveexec_b32 s2, s20
	s_cbranch_execz .LBB0_6
; %bb.5:                                ;   in Loop: Header=BB0_2 Depth=1
	v_cvt_f32_u32_e32 v4, s18
	s_sub_co_i32 s20, 0, s18
	v_mov_b32_e32 v20, v3
	s_delay_alu instid0(VALU_DEP_2) | instskip(NEXT) | instid1(TRANS32_DEP_1)
	v_rcp_iflag_f32_e32 v4, v4
	v_mul_f32_e32 v4, 0x4f7ffffe, v4
	s_delay_alu instid0(VALU_DEP_1) | instskip(SKIP_1) | instid1(VALU_DEP_1)
	v_cvt_u32_f32_e32 v4, v4
	s_wait_alu 0xfffe
	v_mul_lo_u32 v7, s20, v4
	s_delay_alu instid0(VALU_DEP_1) | instskip(NEXT) | instid1(VALU_DEP_1)
	v_mul_hi_u32 v7, v4, v7
	v_add_nc_u32_e32 v4, v4, v7
	s_delay_alu instid0(VALU_DEP_1) | instskip(NEXT) | instid1(VALU_DEP_1)
	v_mul_hi_u32 v4, v5, v4
	v_mul_lo_u32 v7, v4, s18
	v_add_nc_u32_e32 v8, 1, v4
	s_delay_alu instid0(VALU_DEP_2) | instskip(NEXT) | instid1(VALU_DEP_1)
	v_sub_nc_u32_e32 v7, v5, v7
	v_subrev_nc_u32_e32 v9, s18, v7
	v_cmp_le_u32_e32 vcc_lo, s18, v7
	s_wait_alu 0xfffd
	s_delay_alu instid0(VALU_DEP_2) | instskip(NEXT) | instid1(VALU_DEP_1)
	v_dual_cndmask_b32 v7, v7, v9 :: v_dual_cndmask_b32 v4, v4, v8
	v_cmp_le_u32_e32 vcc_lo, s18, v7
	s_delay_alu instid0(VALU_DEP_2) | instskip(SKIP_1) | instid1(VALU_DEP_1)
	v_add_nc_u32_e32 v8, 1, v4
	s_wait_alu 0xfffd
	v_cndmask_b32_e32 v19, v4, v8, vcc_lo
.LBB0_6:                                ;   in Loop: Header=BB0_2 Depth=1
	s_wait_alu 0xfffe
	s_or_b32 exec_lo, exec_lo, s2
	s_load_b64 s[20:21], s[12:13], 0x0
	v_mul_lo_u32 v4, v20, s18
	v_mul_lo_u32 v9, v19, s19
	v_mad_co_u64_u32 v[7:8], null, v19, s18, 0
	s_add_nc_u64 s[14:15], s[14:15], 1
	s_add_nc_u64 s[12:13], s[12:13], 8
	s_wait_alu 0xfffe
	v_cmp_ge_u64_e64 s2, s[14:15], s[6:7]
	s_add_nc_u64 s[16:17], s[16:17], 8
	s_delay_alu instid0(VALU_DEP_2) | instskip(NEXT) | instid1(VALU_DEP_3)
	v_add3_u32 v4, v8, v9, v4
	v_sub_co_u32 v5, vcc_lo, v5, v7
	s_wait_alu 0xfffd
	s_delay_alu instid0(VALU_DEP_2) | instskip(SKIP_3) | instid1(VALU_DEP_2)
	v_sub_co_ci_u32_e32 v4, vcc_lo, v6, v4, vcc_lo
	s_and_b32 vcc_lo, exec_lo, s2
	s_wait_kmcnt 0x0
	v_mul_lo_u32 v6, s21, v5
	v_mul_lo_u32 v4, s20, v4
	v_mad_co_u64_u32 v[1:2], null, s20, v5, v[1:2]
	s_delay_alu instid0(VALU_DEP_1)
	v_add3_u32 v2, v6, v2, v4
	s_wait_alu 0xfffe
	s_cbranch_vccnz .LBB0_9
; %bb.7:                                ;   in Loop: Header=BB0_2 Depth=1
	v_dual_mov_b32 v5, v19 :: v_dual_mov_b32 v6, v20
	s_branch .LBB0_2
.LBB0_8:
	v_dual_mov_b32 v20, v6 :: v_dual_mov_b32 v19, v5
.LBB0_9:
	s_lshl_b64 s[2:3], s[6:7], 3
	s_load_b64 s[0:1], s[0:1], 0x20
	s_add_nc_u64 s[2:3], s[10:11], s[2:3]
	v_mul_hi_u32 v9, 0x4ec4ec5, v0
	s_load_b64 s[2:3], s[2:3], 0x0
	v_mov_b32_e32 v3, 0
	v_mov_b32_e32 v4, 0
                                        ; implicit-def: $vgpr54
                                        ; implicit-def: $vgpr40
                                        ; implicit-def: $vgpr36
                                        ; implicit-def: $vgpr42
                                        ; implicit-def: $vgpr32
                                        ; implicit-def: $vgpr44
                                        ; implicit-def: $vgpr34
                                        ; implicit-def: $vgpr38
                                        ; implicit-def: $vgpr30
                                        ; implicit-def: $vgpr46
                                        ; implicit-def: $vgpr50
                                        ; implicit-def: $vgpr48
                                        ; implicit-def: $vgpr52
	s_delay_alu instid0(VALU_DEP_1)
	v_dual_mov_b32 v12, v4 :: v_dual_mov_b32 v11, v3
	v_dual_mov_b32 v8, v4 :: v_dual_mov_b32 v7, v3
	;; [unrolled: 1-line block ×5, first 2 shown]
	s_wait_kmcnt 0x0
	v_cmp_gt_u64_e32 vcc_lo, s[0:1], v[19:20]
	v_dual_mov_b32 v14, v4 :: v_dual_mov_b32 v13, v3
	v_mul_lo_u32 v10, s2, v20
	v_mul_lo_u32 v23, s3, v19
	v_mad_co_u64_u32 v[27:28], null, s2, v19, v[1:2]
	v_mul_u32_u24_e32 v1, 52, v9
	v_dual_mov_b32 v16, v4 :: v_dual_mov_b32 v15, v3
	v_dual_mov_b32 v22, v4 :: v_dual_mov_b32 v21, v3
	s_delay_alu instid0(VALU_DEP_3) | instskip(SKIP_3) | instid1(VALU_DEP_3)
	v_sub_nc_u32_e32 v2, v0, v1
	v_add3_u32 v28, v23, v28, v10
	v_dual_mov_b32 v24, v4 :: v_dual_mov_b32 v23, v3
	v_dual_mov_b32 v10, v4 :: v_dual_mov_b32 v9, v3
	v_lshlrev_b64_e32 v[0:1], 3, v[27:28]
	v_dual_mov_b32 v20, v4 :: v_dual_mov_b32 v19, v3
	v_dual_mov_b32 v28, v4 :: v_dual_mov_b32 v27, v3
	s_and_saveexec_b32 s1, vcc_lo
; %bb.10:
	v_mov_b32_e32 v3, 0
	s_delay_alu instid0(VALU_DEP_4) | instskip(SKIP_2) | instid1(VALU_DEP_3)
	v_add_co_u32 v5, s0, s8, v0
	s_wait_alu 0xf1ff
	v_add_co_ci_u32_e64 v6, s0, s9, v1, s0
	v_lshlrev_b64_e32 v[3:4], 3, v[2:3]
	s_delay_alu instid0(VALU_DEP_1) | instskip(SKIP_1) | instid1(VALU_DEP_2)
	v_add_co_u32 v45, s0, v5, v3
	s_wait_alu 0xf1ff
	v_add_co_ci_u32_e64 v46, s0, v6, v4, s0
	s_clause 0x19
	global_load_b64 v[39:40], v[45:46], off offset:5824
	global_load_b64 v[35:36], v[45:46], off offset:6240
	global_load_b64 v[3:4], v[45:46], off
	global_load_b64 v[11:12], v[45:46], off offset:416
	global_load_b64 v[7:8], v[45:46], off offset:832
	;; [unrolled: 1-line block ×23, first 2 shown]
; %bb.11:
	s_wait_alu 0xfffe
	s_or_b32 exec_lo, exec_lo, s1
	s_wait_loadcnt 0x3
	v_dual_sub_f32 v57, v3, v53 :: v_dual_sub_f32 v40, v12, v40
	v_dual_sub_f32 v63, v7, v35 :: v_dual_sub_f32 v42, v26, v42
	v_sub_f32_e32 v67, v18, v48
	v_sub_f32_e32 v69, v14, v32
	;; [unrolled: 1-line block ×3, first 2 shown]
	v_dual_sub_f32 v61, v11, v39 :: v_dual_sub_f32 v36, v8, v36
	v_fma_f32 v39, v12, 2.0, -v40
	v_fma_f32 v62, v7, 2.0, -v63
	v_dual_sub_f32 v65, v6, v52 :: v_dual_sub_f32 v12, v17, v47
	v_dual_sub_f32 v7, v25, v41 :: v_dual_sub_f32 v32, v15, v43
	v_fma_f32 v41, v26, 2.0, -v42
	v_sub_f32_e32 v26, v13, v31
	v_fma_f32 v66, v18, 2.0, -v67
	v_dual_sub_f32 v73, v22, v34 :: v_dual_sub_f32 v18, v9, v29
	v_fma_f32 v68, v14, 2.0, -v69
	v_sub_f32_e32 v14, v21, v33
	v_fma_f32 v58, v4, 2.0, -v59
	v_dual_sub_f32 v4, v5, v51 :: v_dual_sub_f32 v71, v16, v44
	v_fma_f32 v60, v11, 2.0, -v61
	v_fma_f32 v11, v17, 2.0, -v12
	;; [unrolled: 1-line block ×3, first 2 shown]
	s_wait_loadcnt 0x1
	v_dual_sub_f32 v9, v19, v49 :: v_dual_add_nc_u32 v54, 0x104, v2
	v_fma_f32 v64, v6, 2.0, -v65
	v_fma_f32 v6, v25, 2.0, -v7
	;; [unrolled: 1-line block ×4, first 2 shown]
	s_wait_loadcnt 0x0
	v_dual_sub_f32 v21, v27, v45 :: v_dual_add_nc_u32 v52, 0x138, v2
	v_fma_f32 v56, v3, 2.0, -v57
	v_fma_f32 v3, v5, 2.0, -v4
	v_lshl_add_u32 v5, v2, 3, 0
	v_lshl_add_u32 v53, v2, 2, 0
	v_fma_f32 v70, v16, 2.0, -v71
	v_dual_sub_f32 v16, v23, v37 :: v_dual_sub_f32 v75, v24, v38
	s_delay_alu instid0(VALU_DEP_3)
	v_dual_sub_f32 v77, v20, v50 :: v_dual_add_nc_u32 v44, 0x200, v53
	v_add_nc_u32_e32 v33, 52, v2
	v_add_nc_u32_e32 v55, 0xd0, v2
	v_lshl_add_u32 v45, v54, 3, 0
	v_and_b32_e32 v34, 1, v2
	v_sub_f32_e32 v51, v10, v30
	v_lshl_add_u32 v47, v52, 3, 0
	v_fma_f32 v31, v15, 2.0, -v32
	v_dual_sub_f32 v79, v28, v46 :: v_dual_add_nc_u32 v38, 0x400, v53
	ds_store_2addr_b64 v5, v[56:57], v[62:63] offset1:104
	v_add_nc_u32_e32 v56, 0x400, v5
	v_fma_f32 v15, v23, 2.0, -v16
	v_add_nc_u32_e32 v57, 0x800, v5
	v_fma_f32 v35, v8, 2.0, -v36
	v_fma_f32 v8, v19, 2.0, -v9
	v_add_nc_u32_e32 v62, 0x1000, v5
	v_fma_f32 v72, v22, 2.0, -v73
	v_fma_f32 v74, v24, 2.0, -v75
	;; [unrolled: 1-line block ×4, first 2 shown]
	v_lshl_add_u32 v37, v33, 3, 0
	v_lshl_add_u32 v43, v55, 3, 0
	ds_store_b64 v45, v[11:12]
	ds_store_b64 v47, v[25:26]
	ds_store_2addr_b64 v56, v[3:4], v[31:32] offset0:28 offset1:236
	ds_store_2addr_b64 v57, v[13:14], v[15:16] offset0:160 offset1:212
	;; [unrolled: 1-line block ×3, first 2 shown]
	ds_store_b64 v43, v[6:7]
	ds_store_b64 v37, v[60:61]
	ds_store_b64 v5, v[20:21] offset:4992
	v_add_nc_u32_e32 v46, 0x800, v53
	v_add_nc_u32_e32 v32, 0xa00, v53
	;; [unrolled: 1-line block ×3, first 2 shown]
	v_mul_u32_u24_e32 v6, 12, v34
	v_fma_f32 v50, v10, 2.0, -v51
	v_fma_f32 v78, v28, 2.0, -v79
	global_wb scope:SCOPE_SE
	s_wait_dscnt 0x0
	s_barrier_signal -1
	s_barrier_wait -1
	global_inv scope:SCOPE_SE
	ds_load_2addr_b32 v[3:4], v53 offset1:52
	ds_load_2addr_b32 v[27:28], v53 offset0:104 offset1:156
	ds_load_2addr_b32 v[29:30], v44 offset0:80 offset1:132
	;; [unrolled: 1-line block ×4, first 2 shown]
	v_add_nc_u32_e32 v49, 0x1000, v53
	v_add_nc_u32_e32 v31, 0x1200, v53
	ds_load_2addr_b32 v[23:24], v46 offset0:8 offset1:60
	ds_load_2addr_b32 v[15:16], v46 offset0:112 offset1:164
	;; [unrolled: 1-line block ×8, first 2 shown]
	global_wb scope:SCOPE_SE
	s_wait_dscnt 0x0
	s_barrier_signal -1
	s_barrier_wait -1
	global_inv scope:SCOPE_SE
	ds_store_2addr_b64 v5, v[58:59], v[35:36] offset1:104
	ds_store_b64 v45, v[66:67]
	ds_store_b64 v47, v[68:69]
	ds_store_2addr_b64 v56, v[64:65], v[70:71] offset0:28 offset1:236
	ds_store_2addr_b64 v57, v[72:73], v[74:75] offset0:160 offset1:212
	;; [unrolled: 1-line block ×3, first 2 shown]
	ds_store_b64 v43, v[41:42]
	ds_store_b64 v37, v[39:40]
	ds_store_b64 v5, v[78:79] offset:4992
	v_lshlrev_b32_e32 v5, 3, v6
	global_wb scope:SCOPE_SE
	s_wait_dscnt 0x0
	s_barrier_signal -1
	s_barrier_wait -1
	global_inv scope:SCOPE_SE
	s_clause 0x5
	global_load_b128 v[56:59], v5, s[4:5]
	global_load_b128 v[68:71], v5, s[4:5] offset:16
	global_load_b128 v[72:75], v5, s[4:5] offset:32
	;; [unrolled: 1-line block ×5, first 2 shown]
	v_cmp_gt_u32_e64 s0, 26, v2
	s_wait_loadcnt 0x5
	v_mul_f32_e32 v60, v30, v59
	s_wait_loadcnt 0x4
	v_mul_f32_e32 v114, v21, v71
	ds_load_2addr_b32 v[50:51], v53 offset0:104 offset1:156
	ds_load_2addr_b32 v[64:65], v44 offset0:80 offset1:132
	ds_load_2addr_b32 v[88:89], v38 offset0:56 offset1:108
	ds_load_2addr_b32 v[90:91], v38 offset0:160 offset1:212
	ds_load_2addr_b32 v[92:93], v46 offset0:8 offset1:60
	ds_load_2addr_b32 v[94:95], v46 offset0:112 offset1:164
	ds_load_2addr_b32 v[96:97], v32 offset0:88 offset1:140
	ds_load_2addr_b32 v[98:99], v48 offset0:64 offset1:116
	ds_load_2addr_b32 v[100:101], v48 offset0:168 offset1:220
	ds_load_2addr_b32 v[102:103], v49 offset0:16 offset1:68
	ds_load_2addr_b32 v[104:105], v49 offset0:120 offset1:172
	ds_load_2addr_b32 v[106:107], v31 offset0:96 offset1:148
	ds_load_2addr_b32 v[5:6], v53 offset1:52
	v_mul_f32_e32 v108, v27, v57
	v_mul_f32_e32 v66, v28, v57
	;; [unrolled: 1-line block ×4, first 2 shown]
	s_wait_loadcnt 0x3
	v_dual_mul_f32 v42, v26, v69 :: v_dual_mul_f32 v43, v15, v75
	v_mul_f32_e32 v40, v22, v71
	s_wait_dscnt 0xc
	v_mul_f32_e32 v63, v50, v57
	v_mul_f32_e32 v67, v51, v57
	s_wait_dscnt 0xb
	v_mul_f32_e32 v109, v64, v59
	v_mul_f32_e32 v57, v65, v59
	s_wait_dscnt 0x9
	v_dual_mul_f32 v59, v88, v69 :: v_dual_mul_f32 v116, v91, v71
	v_dual_mul_f32 v112, v90, v71 :: v_dual_mul_f32 v113, v89, v69
	s_wait_loadcnt_dscnt 0x208
	v_dual_mul_f32 v120, v19, v79 :: v_dual_mul_f32 v115, v92, v73
	s_wait_dscnt 0x7
	v_mul_f32_e32 v122, v95, v75
	s_wait_loadcnt_dscnt 0x1
	v_dual_mul_f32 v69, v23, v73 :: v_dual_mul_f32 v126, v106, v87
	v_mul_f32_e32 v117, v94, v75
	v_dual_mul_f32 v71, v96, v77 :: v_dual_mul_f32 v128, v7, v87
	v_dual_mul_f32 v118, v98, v79 :: v_dual_mul_f32 v119, v93, v73
	v_dual_fmac_f32 v66, v51, v56 :: v_dual_mul_f32 v125, v9, v85
	v_dual_fmac_f32 v114, v90, v70 :: v_dual_mul_f32 v127, v97, v77
	;; [unrolled: 1-line block ×5, first 2 shown]
	v_fmac_f32_e32 v42, v89, v68
	v_dual_mul_f32 v73, v13, v81 :: v_dual_fmac_f32 v110, v64, v58
	v_dual_mul_f32 v123, v102, v83 :: v_dual_mul_f32 v124, v104, v85
	v_dual_mul_f32 v35, v16, v75 :: v_dual_mul_f32 v36, v18, v77
	;; [unrolled: 1-line block ×3, first 2 shown]
	v_mul_f32_e32 v77, v99, v79
	v_dual_mul_f32 v39, v20, v79 :: v_dual_fmac_f32 v120, v98, v78
	v_dual_mul_f32 v79, v101, v81 :: v_dual_fmac_f32 v128, v106, v86
	s_delay_alu instid0(VALU_DEP_4)
	v_dual_mul_f32 v41, v14, v81 :: v_dual_fmac_f32 v62, v105, v84
	v_mul_f32_e32 v81, v103, v83
	v_fma_f32 v27, v27, v56, -v63
	v_fma_f32 v63, v30, v58, -v57
	v_fma_f32 v57, v26, v68, -v113
	v_fma_f32 v26, v21, v70, -v112
	v_fma_f32 v21, v24, v72, -v119
	v_fma_f32 v24, v15, v74, -v117
	v_fma_f32 v15, v16, v74, -v122
	v_fma_f32 v16, v18, v76, -v127
	v_fma_f32 v18, v19, v78, -v118
	v_fmac_f32_e32 v125, v104, v84
	v_mul_f32_e32 v47, v12, v83
	v_fma_f32 v19, v7, v86, -v126
	v_mul_f32_e32 v83, v105, v85
	v_mul_f32_e32 v85, v107, v87
	s_wait_dscnt 0x0
	v_dual_mul_f32 v61, v8, v87 :: v_dual_add_f32 v50, v5, v108
	v_fma_f32 v7, v14, v80, -v79
	v_add_f32_e32 v14, v108, v128
	v_fma_f32 v64, v8, v86, -v85
	v_sub_f32_e32 v8, v108, v128
	v_fma_f32 v67, v28, v56, -v67
	v_fma_f32 v28, v29, v58, -v109
	;; [unrolled: 1-line block ×3, first 2 shown]
	v_fmac_f32_e32 v111, v88, v68
	v_fma_f32 v29, v17, v76, -v71
	v_fmac_f32_e32 v36, v97, v76
	v_fma_f32 v11, v11, v82, -v123
	v_fmac_f32_e32 v45, v96, v76
	v_dual_fmac_f32 v75, v102, v82 :: v_dual_mul_f32 v76, 0xbf52af12, v8
	v_fma_f32 v9, v9, v84, -v124
	v_fma_f32 v59, v12, v82, -v81
	;; [unrolled: 1-line block ×3, first 2 shown]
	v_sub_f32_e32 v10, v27, v19
	v_add_f32_e32 v12, v27, v19
	v_fma_f32 v23, v23, v72, -v115
	v_dual_fmac_f32 v37, v93, v72 :: v_dual_add_f32 v30, v28, v9
	v_dual_fmac_f32 v43, v94, v74 :: v_dual_sub_f32 v58, v111, v75
	v_dual_fmac_f32 v35, v95, v74 :: v_dual_add_f32 v68, v25, v11
	v_fma_f32 v17, v20, v78, -v77
	v_fmac_f32_e32 v39, v99, v78
	v_dual_fmac_f32 v73, v100, v80 :: v_dual_mul_f32 v74, 0xbeedf032, v10
	v_add_f32_e32 v27, v3, v27
	v_sub_f32_e32 v51, v28, v9
	v_mul_f32_e32 v77, 0xbf52af12, v10
	v_dual_mul_f32 v78, 0xbf7e222b, v8 :: v_dual_mul_f32 v79, 0xbf7e222b, v10
	v_mul_f32_e32 v81, 0xbf6f5d39, v10
	v_fma_f32 v99, 0x3f116cb1, v12, -v76
	v_fmac_f32_e32 v76, 0x3f116cb1, v12
	v_mul_f32_e32 v83, 0xbf29c268, v10
	v_dual_mul_f32 v10, 0xbe750f2a, v10 :: v_dual_fmac_f32 v69, v92, v72
	v_add_f32_e32 v56, v110, v125
	v_dual_sub_f32 v20, v110, v125 :: v_dual_fmac_f32 v47, v103, v82
	v_mul_f32_e32 v72, 0xbeedf032, v8
	v_fma_f32 v13, v13, v80, -v121
	v_fmac_f32_e32 v41, v101, v80
	v_dual_fmac_f32 v61, v107, v86 :: v_dual_mul_f32 v80, 0xbf6f5d39, v8
	v_mul_f32_e32 v82, 0xbf29c268, v8
	v_mul_f32_e32 v8, 0xbe750f2a, v8
	v_dual_add_f32 v27, v27, v28 :: v_dual_mul_f32 v90, 0xbe750f2a, v51
	v_add_f32_e32 v28, v50, v110
	v_mul_f32_e32 v50, 0xbf52af12, v51
	v_fma_f32 v97, 0x3f62ad3f, v12, -v72
	v_fma_f32 v101, 0x3df6dbef, v12, -v78
	v_fmamk_f32 v100, v14, 0x3f116cb1, v77
	v_fma_f32 v77, 0x3f116cb1, v14, -v77
	v_fmac_f32_e32 v72, 0x3f62ad3f, v12
	v_fma_f32 v103, 0xbeb58ec6, v12, -v80
	v_fma_f32 v105, 0xbf3f9e67, v12, -v82
	v_add_f32_e32 v101, v3, v101
	s_delay_alu instid0(VALU_DEP_4) | instskip(NEXT) | instid1(VALU_DEP_4)
	v_dual_add_f32 v77, v5, v77 :: v_dual_add_f32 v72, v3, v72
	v_dual_fmamk_f32 v102, v14, 0x3df6dbef, v79 :: v_dual_add_f32 v103, v3, v103
	v_fma_f32 v79, 0x3df6dbef, v14, -v79
	v_add_f32_e32 v100, v5, v100
	v_dual_fmamk_f32 v104, v14, 0xbeb58ec6, v81 :: v_dual_add_f32 v105, v3, v105
	v_fma_f32 v81, 0xbeb58ec6, v14, -v81
	v_dual_add_f32 v71, v111, v75 :: v_dual_mul_f32 v84, 0xbf52af12, v20
	v_dual_mul_f32 v86, 0xbe750f2a, v20 :: v_dual_mul_f32 v95, 0xbe750f2a, v58
	v_mul_f32_e32 v88, 0x3f7e222b, v20
	v_dual_mul_f32 v89, 0xbf6f5d39, v51 :: v_dual_add_f32 v102, v5, v102
	v_dual_mul_f32 v92, 0x3f7e222b, v51 :: v_dual_add_f32 v97, v3, v97
	v_fmamk_f32 v98, v14, 0x3f62ad3f, v74
	v_mul_f32_e32 v85, 0xbf6f5d39, v20
	v_fma_f32 v74, 0x3f62ad3f, v14, -v74
	v_mul_f32_e32 v87, 0x3f29c268, v20
	v_mul_f32_e32 v20, 0x3eedf032, v20
	v_dual_fmac_f32 v78, 0x3df6dbef, v12 :: v_dual_add_f32 v81, v5, v81
	v_mul_f32_e32 v91, 0x3f29c268, v51
	v_mul_f32_e32 v51, 0x3eedf032, v51
	s_delay_alu instid0(VALU_DEP_3)
	v_dual_add_f32 v79, v5, v79 :: v_dual_add_f32 v78, v3, v78
	v_add_f32_e32 v76, v3, v76
	v_fmamk_f32 v106, v14, 0xbf3f9e67, v83
	v_fma_f32 v83, 0xbf3f9e67, v14, -v83
	v_fma_f32 v22, v22, v70, -v116
	v_sub_f32_e32 v70, v25, v11
	v_fma_f32 v107, 0xbf788fa5, v12, -v8
	v_fmac_f32_e32 v8, 0xbf788fa5, v12
	v_fmamk_f32 v119, v56, 0x3f62ad3f, v51
	v_dual_add_f32 v25, v27, v25 :: v_dual_add_f32 v98, v5, v98
	s_delay_alu instid0(VALU_DEP_4)
	v_dual_add_f32 v107, v3, v107 :: v_dual_fmac_f32 v80, 0xbeb58ec6, v12
	v_add_f32_e32 v74, v5, v74
	v_fmac_f32_e32 v82, 0xbf3f9e67, v12
	v_dual_fmamk_f32 v12, v14, 0xbf788fa5, v10 :: v_dual_add_f32 v83, v5, v83
	v_dual_fmamk_f32 v117, v56, 0xbf3f9e67, v91 :: v_dual_add_f32 v106, v5, v106
	v_fma_f32 v91, 0xbf3f9e67, v56, -v91
	v_dual_mul_f32 v96, 0xbe750f2a, v70 :: v_dual_add_f32 v99, v3, v99
	v_fma_f32 v108, 0xbeb58ec6, v30, -v85
	v_fmac_f32_e32 v85, 0xbeb58ec6, v30
	v_fma_f32 v110, 0xbf3f9e67, v30, -v87
	v_fmac_f32_e32 v87, 0xbf3f9e67, v30
	v_dual_fmamk_f32 v115, v56, 0xbeb58ec6, v89 :: v_dual_add_f32 v80, v3, v80
	v_fmamk_f32 v118, v56, 0x3df6dbef, v92
	v_fma_f32 v92, 0x3df6dbef, v56, -v92
	v_add_f32_e32 v82, v3, v82
	v_add_f32_e32 v3, v3, v8
	v_dual_add_f32 v12, v5, v12 :: v_dual_add_f32 v81, v91, v81
	v_add_f32_e32 v8, v25, v26
	v_dual_mul_f32 v93, 0xbf7e222b, v58 :: v_dual_add_f32 v104, v5, v104
	v_fma_f32 v10, 0xbf788fa5, v14, -v10
	v_fma_f32 v14, 0x3f116cb1, v30, -v84
	;; [unrolled: 1-line block ×3, first 2 shown]
	v_fmac_f32_e32 v84, 0x3f116cb1, v30
	v_fmac_f32_e32 v86, 0xbf788fa5, v30
	v_fma_f32 v112, 0x3df6dbef, v30, -v88
	v_fmac_f32_e32 v88, 0x3df6dbef, v30
	v_fma_f32 v113, 0x3f62ad3f, v30, -v20
	v_fma_f32 v89, 0xbeb58ec6, v56, -v89
	v_fmamk_f32 v116, v56, 0xbf788fa5, v90
	v_fma_f32 v90, 0xbf788fa5, v56, -v90
	v_fmac_f32_e32 v20, 0x3f62ad3f, v30
	v_dual_fmamk_f32 v30, v56, 0x3f116cb1, v50 :: v_dual_add_f32 v5, v5, v10
	v_fma_f32 v50, 0x3f116cb1, v56, -v50
	v_add_f32_e32 v8, v8, v23
	v_dual_mul_f32 v94, 0xbf7e222b, v70 :: v_dual_add_f32 v27, v28, v111
	v_fma_f32 v51, 0x3f62ad3f, v56, -v51
	v_fma_f32 v111, 0xbf788fa5, v68, -v95
	v_add_f32_e32 v25, v30, v98
	v_add_f32_e32 v30, v50, v74
	;; [unrolled: 1-line block ×3, first 2 shown]
	v_dual_add_f32 v76, v89, v77 :: v_dual_fmac_f32 v95, 0xbf788fa5, v68
	v_add_f32_e32 v8, v8, v24
	v_fmamk_f32 v28, v71, 0x3df6dbef, v94
	v_dual_add_f32 v80, v87, v80 :: v_dual_add_f32 v87, v112, v105
	v_fma_f32 v56, 0x3df6dbef, v68, -v93
	s_delay_alu instid0(VALU_DEP_4) | instskip(SKIP_3) | instid1(VALU_DEP_4)
	v_dual_add_f32 v8, v8, v29 :: v_dual_fmac_f32 v93, 0x3df6dbef, v68
	v_add_f32_e32 v83, v92, v83
	v_add_f32_e32 v82, v88, v82
	;; [unrolled: 1-line block ×3, first 2 shown]
	v_dual_add_f32 v8, v8, v18 :: v_dual_add_f32 v77, v109, v101
	v_add_f32_e32 v79, v90, v79
	v_add_f32_e32 v5, v51, v5
	s_delay_alu instid0(VALU_DEP_3)
	v_dual_add_f32 v85, v110, v103 :: v_dual_add_f32 v8, v8, v13
	v_dual_add_f32 v50, v108, v99 :: v_dual_add_f32 v89, v118, v106
	v_fma_f32 v94, 0x3df6dbef, v71, -v94
	global_wb scope:SCOPE_SE
	v_add_f32_e32 v8, v8, v11
	v_dual_add_f32 v10, v27, v114 :: v_dual_add_f32 v27, v84, v72
	v_dual_add_f32 v11, v119, v12 :: v_dual_add_f32 v12, v20, v3
	s_delay_alu instid0(VALU_DEP_3) | instskip(NEXT) | instid1(VALU_DEP_3)
	v_add_f32_e32 v3, v8, v9
	v_add_f32_e32 v10, v10, v69
	;; [unrolled: 1-line block ×6, first 2 shown]
	v_fmamk_f32 v19, v71, 0xbf788fa5, v96
	v_dual_mul_f32 v27, 0x3f6f5d39, v58 :: v_dual_add_f32 v10, v10, v43
	v_add_f32_e32 v84, v116, v102
	s_barrier_signal -1
	s_delay_alu instid0(VALU_DEP_3) | instskip(SKIP_4) | instid1(VALU_DEP_1)
	v_add_f32_e32 v19, v19, v72
	s_barrier_wait -1
	v_add_f32_e32 v10, v10, v45
	global_inv scope:SCOPE_SE
	v_add_f32_e32 v10, v10, v120
	v_add_f32_e32 v10, v10, v73
	s_delay_alu instid0(VALU_DEP_1) | instskip(SKIP_1) | instid1(VALU_DEP_2)
	v_dual_add_f32 v10, v10, v75 :: v_dual_mul_f32 v75, 0x3eedf032, v70
	v_add_f32_e32 v78, v86, v78
	v_add_f32_e32 v8, v10, v125
	v_add_f32_e32 v10, v56, v14
	v_dual_add_f32 v14, v28, v25 :: v_dual_add_f32 v25, v111, v50
	v_fma_f32 v50, 0xbeb58ec6, v68, -v27
	v_fmac_f32_e32 v27, 0xbeb58ec6, v68
	v_dual_add_f32 v9, v8, v128 :: v_dual_add_f32 v8, v94, v30
	s_delay_alu instid0(VALU_DEP_3) | instskip(SKIP_4) | instid1(VALU_DEP_3)
	v_dual_add_f32 v51, v95, v74 :: v_dual_add_f32 v50, v50, v77
	v_fmamk_f32 v77, v71, 0x3f62ad3f, v75
	v_fma_f32 v75, 0x3f62ad3f, v71, -v75
	v_dual_add_f32 v86, v117, v104 :: v_dual_add_f32 v27, v27, v78
	v_mul_f32_e32 v30, 0x3f6f5d39, v70
	v_dual_mul_f32 v78, 0xbf52af12, v70 :: v_dual_add_f32 v75, v75, v81
	s_delay_alu instid0(VALU_DEP_3)
	v_add_f32_e32 v77, v77, v86
	v_mul_f32_e32 v56, 0x3eedf032, v58
	v_fma_f32 v28, 0xbf788fa5, v71, -v96
	v_fmamk_f32 v72, v71, 0xbeb58ec6, v30
	v_mul_f32_e32 v70, 0xbf29c268, v70
	v_fma_f32 v30, 0xbeb58ec6, v71, -v30
	v_fma_f32 v74, 0x3f62ad3f, v68, -v56
	v_fmac_f32_e32 v56, 0x3f62ad3f, v68
	v_add_f32_e32 v72, v72, v84
	v_fmamk_f32 v84, v71, 0xbf3f9e67, v70
	s_delay_alu instid0(VALU_DEP_3) | instskip(SKIP_4) | instid1(VALU_DEP_3)
	v_add_f32_e32 v56, v56, v80
	v_fmamk_f32 v80, v71, 0x3f116cb1, v78
	v_fma_f32 v78, 0x3f116cb1, v71, -v78
	v_add_f32_e32 v30, v30, v79
	v_dual_add_f32 v11, v84, v11 :: v_dual_add_f32 v74, v74, v85
	v_add_f32_e32 v78, v78, v83
	v_add_f32_e32 v83, v26, v13
	v_sub_f32_e32 v13, v26, v13
	v_fma_f32 v26, 0xbf3f9e67, v71, -v70
	v_add_f32_e32 v70, v114, v73
	v_add_f32_e32 v28, v28, v76
	v_mul_f32_e32 v76, 0xbf52af12, v58
	s_delay_alu instid0(VALU_DEP_4) | instskip(SKIP_1) | instid1(VALU_DEP_3)
	v_dual_mul_f32 v58, 0xbf29c268, v58 :: v_dual_add_f32 v5, v26, v5
	v_mul_f32_e32 v71, 0xbf6f5d39, v13
	v_fma_f32 v79, 0x3f116cb1, v68, -v76
	v_fmac_f32_e32 v76, 0x3f116cb1, v68
	s_delay_alu instid0(VALU_DEP_4) | instskip(NEXT) | instid1(VALU_DEP_3)
	v_fma_f32 v81, 0xbf3f9e67, v68, -v58
	v_dual_fmac_f32 v58, 0xbf3f9e67, v68 :: v_dual_add_f32 v79, v79, v87
	s_delay_alu instid0(VALU_DEP_3) | instskip(SKIP_1) | instid1(VALU_DEP_3)
	v_add_f32_e32 v76, v76, v82
	v_sub_f32_e32 v82, v114, v73
	v_add_f32_e32 v12, v58, v12
	v_dual_fmamk_f32 v58, v70, 0xbeb58ec6, v71 :: v_dual_add_f32 v81, v81, v88
	v_sub_f32_e32 v87, v67, v64
	s_delay_alu instid0(VALU_DEP_4) | instskip(SKIP_1) | instid1(VALU_DEP_4)
	v_mul_f32_e32 v85, 0xbf6f5d39, v82
	v_mul_f32_e32 v26, 0x3f29c268, v82
	v_add_f32_e32 v14, v58, v14
	v_add_f32_e32 v88, v66, v61
	v_mul_f32_e32 v86, 0xbf6f5d39, v87
	v_fma_f32 v68, 0xbeb58ec6, v83, -v85
	v_fma_f32 v73, 0xbf3f9e67, v83, -v26
	v_fmac_f32_e32 v26, 0xbf3f9e67, v83
	v_fmac_f32_e32 v85, 0xbeb58ec6, v83
	v_fma_f32 v91, 0xbeb58ec6, v88, -v86
	s_delay_alu instid0(VALU_DEP_4) | instskip(SKIP_4) | instid1(VALU_DEP_2)
	v_dual_mul_f32 v92, 0xbf29c268, v87 :: v_dual_add_f32 v25, v73, v25
	v_add_f32_e32 v10, v68, v10
	v_fma_f32 v68, 0xbeb58ec6, v70, -v71
	v_dual_mul_f32 v71, 0x3f29c268, v13 :: v_dual_add_f32 v26, v26, v51
	v_mul_f32_e32 v51, 0xbf7e222b, v82
	v_fmamk_f32 v58, v70, 0xbf3f9e67, v71
	v_fma_f32 v71, 0xbf3f9e67, v70, -v71
	s_delay_alu instid0(VALU_DEP_2) | instskip(NEXT) | instid1(VALU_DEP_1)
	v_dual_add_f32 v19, v58, v19 :: v_dual_mul_f32 v58, 0x3eedf032, v13
	v_dual_add_f32 v28, v71, v28 :: v_dual_fmamk_f32 v71, v70, 0x3f62ad3f, v58
	v_fma_f32 v58, 0x3f62ad3f, v70, -v58
	s_delay_alu instid0(VALU_DEP_2) | instskip(SKIP_3) | instid1(VALU_DEP_2)
	v_add_f32_e32 v71, v71, v72
	v_add_f32_e32 v8, v68, v8
	v_mul_f32_e32 v68, 0x3eedf032, v82
	v_mul_f32_e32 v72, 0xbf7e222b, v13
	v_fma_f32 v73, 0x3f62ad3f, v83, -v68
	v_fmac_f32_e32 v68, 0x3f62ad3f, v83
	s_delay_alu instid0(VALU_DEP_2) | instskip(SKIP_2) | instid1(VALU_DEP_4)
	v_add_f32_e32 v50, v73, v50
	v_fma_f32 v73, 0x3df6dbef, v83, -v51
	v_fmac_f32_e32 v51, 0x3df6dbef, v83
	v_dual_add_f32 v27, v68, v27 :: v_dual_mul_f32 v68, 0x3e750f2a, v82
	s_delay_alu instid0(VALU_DEP_2) | instskip(NEXT) | instid1(VALU_DEP_4)
	v_dual_add_f32 v51, v51, v56 :: v_dual_add_f32 v30, v58, v30
	v_dual_add_f32 v58, v73, v74 :: v_dual_fmamk_f32 v73, v70, 0x3df6dbef, v72
	v_fma_f32 v72, 0x3df6dbef, v70, -v72
	v_mul_f32_e32 v74, 0x3e750f2a, v13
	v_fma_f32 v84, 0xbf788fa5, v83, -v68
	s_delay_alu instid0(VALU_DEP_4)
	v_dual_fmac_f32 v68, 0xbf788fa5, v83 :: v_dual_add_f32 v73, v73, v77
	v_mul_f32_e32 v77, 0x3f52af12, v82
	v_mul_f32_e32 v13, 0x3f52af12, v13
	v_add_f32_e32 v82, v24, v29
	v_add_f32_e32 v56, v72, v75
	v_dual_fmamk_f32 v72, v70, 0xbf788fa5, v74 :: v_dual_add_f32 v75, v84, v79
	v_fma_f32 v79, 0x3f116cb1, v83, -v77
	v_add_f32_e32 v68, v68, v76
	v_dual_sub_f32 v76, v69, v120 :: v_dual_fmac_f32 v77, 0x3f116cb1, v83
	v_add_f32_e32 v80, v80, v89
	v_fma_f32 v74, 0xbf788fa5, v70, -v74
	v_sub_f32_e32 v24, v24, v29
	v_add_f32_e32 v20, v85, v20
	v_add_f32_e32 v12, v77, v12
	;; [unrolled: 1-line block ×3, first 2 shown]
	v_fmamk_f32 v80, v70, 0x3f116cb1, v13
	v_fma_f32 v13, 0x3f116cb1, v70, -v13
	v_add_f32_e32 v74, v74, v78
	v_add_f32_e32 v78, v79, v81
	;; [unrolled: 1-line block ×3, first 2 shown]
	s_delay_alu instid0(VALU_DEP_4) | instskip(SKIP_3) | instid1(VALU_DEP_4)
	v_dual_sub_f32 v18, v23, v18 :: v_dual_add_f32 v5, v13, v5
	v_mul_f32_e32 v13, 0x3f7e222b, v76
	v_dual_add_f32 v11, v80, v11 :: v_dual_mul_f32 v80, 0xbf29c268, v76
	v_add_f32_e32 v23, v69, v120
	v_mul_f32_e32 v81, 0x3f7e222b, v18
	s_delay_alu instid0(VALU_DEP_4)
	v_fma_f32 v77, 0x3df6dbef, v79, -v13
	v_mul_f32_e32 v70, 0xbf29c268, v18
	v_fma_f32 v69, 0xbf3f9e67, v79, -v80
	v_fmac_f32_e32 v80, 0xbf3f9e67, v79
	v_fmac_f32_e32 v13, 0x3df6dbef, v79
	v_add_f32_e32 v25, v77, v25
	v_fma_f32 v77, 0x3df6dbef, v23, -v81
	v_fmamk_f32 v89, v88, 0xbeb58ec6, v86
	v_add_f32_e32 v20, v80, v20
	v_mul_f32_e32 v80, 0xbf52af12, v18
	v_add_f32_e32 v13, v13, v26
	v_add_f32_e32 v77, v77, v28
	v_dual_add_f32 v10, v69, v10 :: v_dual_fmamk_f32 v69, v23, 0xbf3f9e67, v70
	v_fma_f32 v70, 0xbf3f9e67, v23, -v70
	v_fmamk_f32 v26, v23, 0x3f116cb1, v80
	v_mul_f32_e32 v28, 0x3e750f2a, v76
	s_delay_alu instid0(VALU_DEP_3) | instskip(SKIP_1) | instid1(VALU_DEP_4)
	v_dual_add_f32 v14, v69, v14 :: v_dual_add_f32 v69, v70, v8
	v_fmamk_f32 v8, v23, 0x3df6dbef, v81
	v_dual_mul_f32 v70, 0xbf52af12, v76 :: v_dual_add_f32 v71, v26, v71
	s_delay_alu instid0(VALU_DEP_4) | instskip(SKIP_1) | instid1(VALU_DEP_4)
	v_fma_f32 v26, 0xbf788fa5, v79, -v28
	v_fmac_f32_e32 v28, 0xbf788fa5, v79
	v_add_f32_e32 v19, v8, v19
	s_delay_alu instid0(VALU_DEP_4) | instskip(SKIP_1) | instid1(VALU_DEP_4)
	v_fma_f32 v8, 0x3f116cb1, v79, -v70
	v_fmac_f32_e32 v70, 0x3f116cb1, v79
	v_dual_add_f32 v58, v26, v58 :: v_dual_add_f32 v51, v28, v51
	s_delay_alu instid0(VALU_DEP_3) | instskip(SKIP_2) | instid1(VALU_DEP_2)
	v_add_f32_e32 v50, v8, v50
	v_fma_f32 v8, 0x3f116cb1, v23, -v80
	v_mul_f32_e32 v80, 0x3e750f2a, v18
	v_dual_add_f32 v70, v70, v27 :: v_dual_add_f32 v81, v8, v30
	v_mul_f32_e32 v8, 0x3eedf032, v76
	s_delay_alu instid0(VALU_DEP_3) | instskip(SKIP_4) | instid1(VALU_DEP_4)
	v_fmamk_f32 v26, v23, 0xbf788fa5, v80
	v_fma_f32 v27, 0xbf788fa5, v23, -v80
	v_mul_f32_e32 v80, 0x3eedf032, v18
	v_mul_f32_e32 v18, 0xbf6f5d39, v18
	v_fma_f32 v30, 0x3f62ad3f, v79, -v8
	v_dual_add_f32 v73, v26, v73 :: v_dual_add_f32 v56, v27, v56
	v_dual_mul_f32 v27, 0xbf6f5d39, v76 :: v_dual_sub_f32 v76, v43, v45
	s_delay_alu instid0(VALU_DEP_3) | instskip(SKIP_3) | instid1(VALU_DEP_4)
	v_dual_add_f32 v75, v30, v75 :: v_dual_fmamk_f32 v30, v23, 0xbeb58ec6, v18
	v_fmamk_f32 v26, v23, 0x3f62ad3f, v80
	v_fmac_f32_e32 v8, 0x3f62ad3f, v79
	v_fma_f32 v28, 0x3f62ad3f, v23, -v80
	v_dual_add_f32 v80, v30, v11 :: v_dual_mul_f32 v11, 0xbe750f2a, v76
	s_delay_alu instid0(VALU_DEP_4)
	v_add_f32_e32 v72, v26, v72
	v_fma_f32 v26, 0xbeb58ec6, v79, -v27
	v_dual_add_f32 v68, v8, v68 :: v_dual_fmac_f32 v27, 0xbeb58ec6, v79
	v_fma_f32 v8, 0xbeb58ec6, v23, -v18
	v_dual_add_f32 v79, v43, v45 :: v_dual_mul_f32 v18, 0xbe750f2a, v24
	v_fma_f32 v23, 0xbf788fa5, v82, -v11
	v_add_f32_e32 v74, v28, v74
	s_delay_alu instid0(VALU_DEP_4)
	v_add_f32_e32 v84, v8, v5
	v_mul_f32_e32 v28, 0x3eedf032, v76
	v_fmamk_f32 v5, v79, 0xbf788fa5, v18
	v_add_f32_e32 v8, v23, v10
	v_fma_f32 v10, 0xbf788fa5, v79, -v18
	v_mul_f32_e32 v18, 0xbf29c268, v76
	v_add_f32_e32 v83, v27, v12
	v_fma_f32 v12, 0x3f62ad3f, v82, -v28
	v_fmac_f32_e32 v11, 0xbf788fa5, v82
	v_fmac_f32_e32 v28, 0x3f62ad3f, v82
	v_fma_f32 v23, 0xbf3f9e67, v82, -v18
	s_delay_alu instid0(VALU_DEP_4) | instskip(SKIP_1) | instid1(VALU_DEP_3)
	v_dual_fmac_f32 v18, 0xbf3f9e67, v82 :: v_dual_add_f32 v27, v12, v25
	v_add_f32_e32 v10, v10, v69
	v_dual_add_f32 v28, v28, v13 :: v_dual_add_f32 v29, v23, v50
	s_delay_alu instid0(VALU_DEP_3) | instskip(SKIP_1) | instid1(VALU_DEP_2)
	v_dual_mul_f32 v23, 0x3f52af12, v24 :: v_dual_add_f32 v30, v18, v70
	v_mul_f32_e32 v70, 0x3f7e222b, v76
	v_fmamk_f32 v25, v79, 0x3f116cb1, v23
	s_delay_alu instid0(VALU_DEP_1) | instskip(NEXT) | instid1(VALU_DEP_1)
	v_dual_add_f32 v18, v25, v73 :: v_dual_mul_f32 v25, 0xbf6f5d39, v76
	v_fma_f32 v50, 0xbeb58ec6, v82, -v25
	s_delay_alu instid0(VALU_DEP_1)
	v_dual_fmac_f32 v25, 0xbeb58ec6, v82 :: v_dual_add_f32 v50, v50, v75
	v_sub_f32_e32 v75, v66, v61
	v_add_f32_e32 v78, v26, v78
	v_add_f32_e32 v26, v5, v14
	v_mul_f32_e32 v14, 0x3eedf032, v24
	v_add_f32_e32 v5, v11, v20
	v_mul_f32_e32 v20, 0xbf29c268, v24
	v_mul_f32_e32 v90, 0xbf29c268, v75
	s_delay_alu instid0(VALU_DEP_4) | instskip(SKIP_1) | instid1(VALU_DEP_4)
	v_fmamk_f32 v11, v79, 0x3f62ad3f, v14
	v_fma_f32 v14, 0x3f62ad3f, v79, -v14
	v_fmamk_f32 v13, v79, 0xbf3f9e67, v20
	s_delay_alu instid0(VALU_DEP_3) | instskip(NEXT) | instid1(VALU_DEP_3)
	v_dual_add_f32 v12, v11, v19 :: v_dual_mul_f32 v19, 0x3f52af12, v76
	v_add_f32_e32 v11, v14, v77
	v_fma_f32 v14, 0xbf3f9e67, v79, -v20
	s_delay_alu instid0(VALU_DEP_4) | instskip(NEXT) | instid1(VALU_DEP_4)
	v_add_f32_e32 v13, v13, v71
	v_fma_f32 v20, 0x3f116cb1, v82, -v19
	s_delay_alu instid0(VALU_DEP_3) | instskip(NEXT) | instid1(VALU_DEP_2)
	v_dual_fmac_f32 v19, 0x3f116cb1, v82 :: v_dual_add_f32 v14, v14, v81
	v_add_f32_e32 v45, v20, v58
	v_add_f32_e32 v20, v4, v67
	s_delay_alu instid0(VALU_DEP_3) | instskip(SKIP_2) | instid1(VALU_DEP_4)
	v_add_f32_e32 v43, v19, v51
	v_fma_f32 v19, 0x3f116cb1, v79, -v23
	v_dual_add_f32 v23, v6, v66 :: v_dual_mul_f32 v58, 0xbf6f5d39, v24
	v_add_f32_e32 v20, v20, v63
	v_mul_f32_e32 v24, 0x3f7e222b, v24
	s_delay_alu instid0(VALU_DEP_4) | instskip(NEXT) | instid1(VALU_DEP_4)
	v_add_f32_e32 v19, v19, v56
	v_add_f32_e32 v23, v23, v60
	s_delay_alu instid0(VALU_DEP_4) | instskip(NEXT) | instid1(VALU_DEP_4)
	v_dual_fmamk_f32 v51, v79, 0xbeb58ec6, v58 :: v_dual_add_f32 v56, v20, v57
	v_fma_f32 v71, 0x3df6dbef, v79, -v24
	s_delay_alu instid0(VALU_DEP_3) | instskip(NEXT) | instid1(VALU_DEP_3)
	v_dual_mul_f32 v66, 0xbeedf032, v87 :: v_dual_add_f32 v23, v23, v42
	v_add_f32_e32 v20, v51, v72
	v_add_f32_e32 v51, v25, v68
	;; [unrolled: 1-line block ×3, first 2 shown]
	v_fma_f32 v56, 0xbeb58ec6, v79, -v58
	v_add_f32_e32 v23, v23, v40
	v_fma_f32 v58, 0x3df6dbef, v82, -v70
	s_delay_alu instid0(VALU_DEP_4) | instskip(NEXT) | instid1(VALU_DEP_3)
	v_dual_fmac_f32 v70, 0x3df6dbef, v82 :: v_dual_add_f32 v25, v25, v21
	v_dual_add_f32 v68, v23, v37 :: v_dual_add_f32 v23, v56, v74
	s_delay_alu instid0(VALU_DEP_2) | instskip(NEXT) | instid1(VALU_DEP_2)
	v_dual_add_f32 v56, v58, v78 :: v_dual_add_f32 v25, v25, v15
	v_dual_fmamk_f32 v58, v79, 0x3df6dbef, v24 :: v_dual_add_f32 v69, v68, v35
	v_mul_f32_e32 v78, 0xbf7e222b, v87
	s_delay_alu instid0(VALU_DEP_3) | instskip(SKIP_1) | instid1(VALU_DEP_4)
	v_add_f32_e32 v68, v25, v16
	v_add_f32_e32 v25, v71, v84
	;; [unrolled: 1-line block ×3, first 2 shown]
	v_dual_add_f32 v84, v67, v64 :: v_dual_mul_f32 v67, 0xbeedf032, v75
	s_delay_alu instid0(VALU_DEP_4) | instskip(NEXT) | instid1(VALU_DEP_3)
	v_add_f32_e32 v68, v68, v17
	v_dual_add_f32 v24, v58, v80 :: v_dual_add_f32 v69, v69, v39
	v_add_f32_e32 v58, v70, v83
	s_delay_alu instid0(VALU_DEP_4) | instskip(NEXT) | instid1(VALU_DEP_4)
	v_fma_f32 v70, 0x3f62ad3f, v84, -v67
	v_dual_add_f32 v68, v68, v7 :: v_dual_fmac_f32 v67, 0x3f62ad3f, v84
	s_delay_alu instid0(VALU_DEP_4) | instskip(NEXT) | instid1(VALU_DEP_3)
	v_add_f32_e32 v69, v69, v41
	v_dual_mul_f32 v71, 0xbf52af12, v87 :: v_dual_add_f32 v82, v4, v70
	s_delay_alu instid0(VALU_DEP_3) | instskip(SKIP_1) | instid1(VALU_DEP_4)
	v_add_f32_e32 v85, v68, v59
	v_mul_f32_e32 v68, 0xbf52af12, v75
	v_add_f32_e32 v79, v69, v47
	v_fmamk_f32 v69, v88, 0x3f62ad3f, v66
	v_fma_f32 v66, 0x3f62ad3f, v88, -v66
	v_add_f32_e32 v74, v4, v67
	v_fma_f32 v70, 0x3f116cb1, v84, -v68
	s_delay_alu instid0(VALU_DEP_4) | instskip(NEXT) | instid1(VALU_DEP_4)
	v_dual_fmac_f32 v68, 0x3f116cb1, v84 :: v_dual_add_f32 v77, v6, v69
	v_dual_add_f32 v73, v6, v66 :: v_dual_fmamk_f32 v66, v88, 0x3f116cb1, v71
	s_delay_alu instid0(VALU_DEP_3) | instskip(SKIP_1) | instid1(VALU_DEP_4)
	v_dual_add_f32 v69, v4, v70 :: v_dual_mul_f32 v70, 0xbf7e222b, v75
	v_fma_f32 v67, 0x3f116cb1, v88, -v71
	v_add_f32_e32 v71, v4, v68
	v_fmamk_f32 v68, v88, 0x3df6dbef, v78
	v_add_f32_e32 v76, v6, v66
	v_fma_f32 v72, 0x3df6dbef, v84, -v70
	v_mul_f32_e32 v83, 0xbf6f5d39, v75
	v_mul_f32_e32 v75, 0xbe750f2a, v75
	v_fmac_f32_e32 v70, 0x3df6dbef, v84
	s_delay_alu instid0(VALU_DEP_4)
	v_dual_mul_f32 v87, 0xbe750f2a, v87 :: v_dual_add_f32 v66, v4, v72
	v_add_f32_e32 v72, v6, v68
	v_fma_f32 v68, 0x3df6dbef, v88, -v78
	v_fma_f32 v78, 0xbeb58ec6, v84, -v83
	v_dual_fmac_f32 v83, 0xbeb58ec6, v84 :: v_dual_add_f32 v70, v4, v70
	v_fmamk_f32 v93, v88, 0xbf788fa5, v87
	s_delay_alu instid0(VALU_DEP_4)
	v_add_f32_e32 v81, v6, v68
	v_add_f32_e32 v68, v6, v89
	v_fma_f32 v89, 0xbf3f9e67, v84, -v90
	v_add_f32_e32 v80, v4, v78
	v_add_f32_e32 v78, v4, v83
	v_fmac_f32_e32 v90, 0xbf3f9e67, v84
	v_fma_f32 v94, 0xbf788fa5, v88, -v87
	v_add_f32_e32 v83, v4, v89
	v_fma_f32 v89, 0xbf788fa5, v84, -v75
	s_delay_alu instid0(VALU_DEP_4) | instskip(SKIP_1) | instid1(VALU_DEP_3)
	v_dual_fmac_f32 v75, 0xbf788fa5, v84 :: v_dual_add_f32 v86, v4, v90
	v_add_f32_e32 v87, v6, v93
	v_dual_add_f32 v67, v6, v67 :: v_dual_add_f32 v84, v4, v89
	s_delay_alu instid0(VALU_DEP_3) | instskip(SKIP_4) | instid1(VALU_DEP_4)
	v_add_f32_e32 v75, v4, v75
	v_fmamk_f32 v4, v88, 0xbf3f9e67, v92
	v_fma_f32 v92, 0xbf3f9e67, v88, -v92
	v_add_f32_e32 v89, v6, v91
	v_sub_f32_e32 v91, v63, v65
	v_dual_add_f32 v63, v63, v65 :: v_dual_add_f32 v90, v6, v4
	s_delay_alu instid0(VALU_DEP_4) | instskip(SKIP_3) | instid1(VALU_DEP_3)
	v_add_f32_e32 v88, v6, v92
	v_sub_f32_e32 v92, v60, v62
	v_dual_add_f32 v4, v85, v65 :: v_dual_add_f32 v85, v60, v62
	v_dual_mul_f32 v93, 0xbf52af12, v91 :: v_dual_add_f32 v60, v79, v62
	v_mul_f32_e32 v65, 0xbf52af12, v92
	s_delay_alu instid0(VALU_DEP_3) | instskip(SKIP_1) | instid1(VALU_DEP_4)
	v_add_f32_e32 v4, v4, v64
	v_add_f32_e32 v6, v6, v94
	v_fmamk_f32 v64, v85, 0x3f116cb1, v93
	v_add_f32_e32 v60, v60, v61
	v_fma_f32 v62, 0x3f116cb1, v63, -v65
	v_mul_f32_e32 v61, 0xbf6f5d39, v92
	v_fmac_f32_e32 v65, 0x3f116cb1, v63
	v_fma_f32 v79, 0x3f116cb1, v85, -v93
	v_add_f32_e32 v64, v64, v77
	v_add_f32_e32 v62, v62, v82
	v_mul_f32_e32 v82, 0xbf6f5d39, v91
	v_fma_f32 v93, 0xbeb58ec6, v63, -v61
	v_add_f32_e32 v65, v65, v74
	v_mul_f32_e32 v77, 0xbe750f2a, v92
	s_delay_alu instid0(VALU_DEP_4) | instskip(NEXT) | instid1(VALU_DEP_4)
	v_dual_add_f32 v73, v79, v73 :: v_dual_fmamk_f32 v74, v85, 0xbeb58ec6, v82
	v_add_f32_e32 v69, v93, v69
	v_fmac_f32_e32 v61, 0xbeb58ec6, v63
	v_mul_f32_e32 v79, 0xbe750f2a, v91
	v_mul_f32_e32 v93, 0x3f29c268, v92
	v_add_f32_e32 v74, v74, v76
	v_fma_f32 v76, 0xbeb58ec6, v85, -v82
	v_fma_f32 v82, 0xbf788fa5, v63, -v77
	v_add_f32_e32 v61, v61, v71
	v_fmamk_f32 v71, v85, 0xbf788fa5, v79
	v_fmac_f32_e32 v77, 0xbf788fa5, v63
	s_delay_alu instid0(VALU_DEP_4) | instskip(SKIP_4) | instid1(VALU_DEP_4)
	v_dual_add_f32 v67, v76, v67 :: v_dual_add_f32 v66, v82, v66
	v_fma_f32 v76, 0xbf788fa5, v85, -v79
	v_fma_f32 v79, 0xbf3f9e67, v63, -v93
	v_dual_mul_f32 v82, 0x3f29c268, v91 :: v_dual_add_f32 v71, v71, v72
	v_add_f32_e32 v70, v77, v70
	v_add_f32_e32 v72, v76, v81
	s_delay_alu instid0(VALU_DEP_3) | instskip(SKIP_2) | instid1(VALU_DEP_3)
	v_dual_add_f32 v76, v79, v80 :: v_dual_fmamk_f32 v77, v85, 0xbf3f9e67, v82
	v_dual_mul_f32 v79, 0x3f7e222b, v92 :: v_dual_mul_f32 v80, 0x3f7e222b, v91
	v_fma_f32 v81, 0xbf3f9e67, v85, -v82
	v_dual_fmac_f32 v93, 0xbf3f9e67, v63 :: v_dual_add_f32 v68, v77, v68
	s_delay_alu instid0(VALU_DEP_3) | instskip(NEXT) | instid1(VALU_DEP_4)
	v_fma_f32 v77, 0x3df6dbef, v63, -v79
	v_fmamk_f32 v82, v85, 0x3df6dbef, v80
	s_delay_alu instid0(VALU_DEP_4) | instskip(SKIP_4) | instid1(VALU_DEP_4)
	v_add_f32_e32 v81, v81, v89
	v_mul_f32_e32 v89, 0x3eedf032, v92
	v_fmac_f32_e32 v79, 0x3df6dbef, v63
	v_fma_f32 v80, 0x3df6dbef, v85, -v80
	v_add_f32_e32 v77, v77, v83
	v_fma_f32 v83, 0x3f62ad3f, v63, -v89
	s_delay_alu instid0(VALU_DEP_4) | instskip(NEXT) | instid1(VALU_DEP_4)
	v_dual_add_f32 v79, v79, v86 :: v_dual_sub_f32 v86, v42, v47
	v_add_f32_e32 v80, v80, v88
	v_add_f32_e32 v88, v57, v59
	v_sub_f32_e32 v57, v57, v59
	v_fmac_f32_e32 v89, 0x3f62ad3f, v63
	v_dual_add_f32 v42, v42, v47 :: v_dual_add_f32 v83, v83, v84
	s_delay_alu instid0(VALU_DEP_3) | instskip(NEXT) | instid1(VALU_DEP_3)
	v_mul_f32_e32 v63, 0xbf7e222b, v57
	v_add_f32_e32 v75, v89, v75
	v_dual_mul_f32 v89, 0x3eedf032, v57 :: v_dual_add_f32 v82, v82, v90
	v_mul_f32_e32 v90, 0x3eedf032, v91
	v_mul_f32_e32 v91, 0xbf7e222b, v86
	s_delay_alu instid0(VALU_DEP_2) | instskip(NEXT) | instid1(VALU_DEP_2)
	v_fma_f32 v59, 0x3f62ad3f, v85, -v90
	v_fma_f32 v47, 0x3df6dbef, v88, -v91
	v_fmamk_f32 v84, v85, 0x3f62ad3f, v90
	v_mul_f32_e32 v85, 0xbe750f2a, v57
	s_delay_alu instid0(VALU_DEP_4) | instskip(NEXT) | instid1(VALU_DEP_4)
	v_dual_fmac_f32 v91, 0x3df6dbef, v88 :: v_dual_add_f32 v6, v59, v6
	v_add_f32_e32 v47, v47, v62
	v_fmamk_f32 v59, v42, 0x3df6dbef, v63
	v_mul_f32_e32 v62, 0xbe750f2a, v86
	v_fma_f32 v63, 0x3df6dbef, v42, -v63
	v_dual_add_f32 v84, v84, v87 :: v_dual_mul_f32 v87, 0x3f6f5d39, v86
	s_delay_alu instid0(VALU_DEP_4) | instskip(NEXT) | instid1(VALU_DEP_4)
	v_add_f32_e32 v59, v59, v64
	v_fma_f32 v64, 0xbf788fa5, v88, -v62
	s_delay_alu instid0(VALU_DEP_4) | instskip(SKIP_2) | instid1(VALU_DEP_4)
	v_add_f32_e32 v63, v63, v73
	v_dual_fmamk_f32 v73, v42, 0xbf788fa5, v85 :: v_dual_fmac_f32 v62, 0xbf788fa5, v88
	v_add_f32_e32 v65, v91, v65
	v_add_f32_e32 v64, v64, v69
	v_fma_f32 v69, 0xbf788fa5, v42, -v85
	s_delay_alu instid0(VALU_DEP_4) | instskip(SKIP_2) | instid1(VALU_DEP_4)
	v_add_f32_e32 v73, v73, v74
	v_fma_f32 v74, 0xbeb58ec6, v88, -v87
	v_mul_f32_e32 v85, 0x3f6f5d39, v57
	v_dual_add_f32 v61, v62, v61 :: v_dual_add_f32 v62, v69, v67
	v_mul_f32_e32 v67, 0x3eedf032, v86
	s_delay_alu instid0(VALU_DEP_4) | instskip(NEXT) | instid1(VALU_DEP_4)
	v_add_f32_e32 v66, v74, v66
	v_fmamk_f32 v69, v42, 0xbeb58ec6, v85
	v_fma_f32 v74, 0xbeb58ec6, v42, -v85
	v_fmac_f32_e32 v87, 0xbeb58ec6, v88
	v_fma_f32 v85, 0x3f62ad3f, v88, -v67
	v_fmac_f32_e32 v67, 0x3f62ad3f, v88
	v_add_f32_e32 v69, v69, v71
	v_add_f32_e32 v71, v74, v72
	v_fmamk_f32 v74, v42, 0x3f62ad3f, v89
	v_add_f32_e32 v72, v85, v76
	v_add_f32_e32 v78, v93, v78
	v_dual_mul_f32 v76, 0xbf52af12, v86 :: v_dual_mul_f32 v85, 0xbf52af12, v57
	s_delay_alu instid0(VALU_DEP_4) | instskip(SKIP_1) | instid1(VALU_DEP_4)
	v_add_f32_e32 v68, v74, v68
	v_mul_f32_e32 v86, 0xbf29c268, v86
	v_add_f32_e32 v67, v67, v78
	s_delay_alu instid0(VALU_DEP_4) | instskip(SKIP_3) | instid1(VALU_DEP_4)
	v_fma_f32 v74, 0x3f116cb1, v88, -v76
	v_fmamk_f32 v78, v42, 0x3f116cb1, v85
	v_fmac_f32_e32 v76, 0x3f116cb1, v88
	v_dual_mul_f32 v57, 0xbf29c268, v57 :: v_dual_add_f32 v70, v87, v70
	v_add_f32_e32 v74, v74, v77
	s_delay_alu instid0(VALU_DEP_4)
	v_add_f32_e32 v77, v78, v82
	v_fma_f32 v78, 0x3f116cb1, v42, -v85
	v_fma_f32 v82, 0xbf3f9e67, v88, -v86
	v_add_f32_e32 v76, v76, v79
	v_sub_f32_e32 v79, v40, v41
	v_fma_f32 v87, 0x3f62ad3f, v42, -v89
	v_add_f32_e32 v78, v78, v80
	v_add_f32_e32 v80, v82, v83
	;; [unrolled: 1-line block ×3, first 2 shown]
	v_mul_f32_e32 v85, 0xbf6f5d39, v79
	v_sub_f32_e32 v7, v22, v7
	v_fmamk_f32 v82, v42, 0xbf3f9e67, v57
	v_fma_f32 v22, 0xbf3f9e67, v42, -v57
	v_add_f32_e32 v40, v40, v41
	v_fma_f32 v41, 0xbeb58ec6, v83, -v85
	s_delay_alu instid0(VALU_DEP_4) | instskip(NEXT) | instid1(VALU_DEP_4)
	v_dual_mul_f32 v42, 0xbf6f5d39, v7 :: v_dual_add_f32 v57, v82, v84
	v_add_f32_e32 v6, v22, v6
	v_mul_f32_e32 v82, 0x3f29c268, v7
	s_delay_alu instid0(VALU_DEP_3)
	v_dual_add_f32 v22, v41, v47 :: v_dual_fmamk_f32 v41, v40, 0xbeb58ec6, v42
	v_mul_f32_e32 v47, 0x3f29c268, v79
	v_fma_f32 v42, 0xbeb58ec6, v40, -v42
	v_mul_f32_e32 v84, 0x3eedf032, v79
	v_fmac_f32_e32 v85, 0xbeb58ec6, v83
	v_add_f32_e32 v41, v41, v59
	v_fma_f32 v59, 0xbf3f9e67, v83, -v47
	v_dual_add_f32 v42, v42, v63 :: v_dual_fmamk_f32 v63, v40, 0xbf3f9e67, v82
	v_fmac_f32_e32 v47, 0xbf3f9e67, v83
	v_add_f32_e32 v65, v85, v65
	s_delay_alu instid0(VALU_DEP_4) | instskip(SKIP_4) | instid1(VALU_DEP_4)
	v_add_f32_e32 v59, v59, v64
	v_fma_f32 v64, 0xbf3f9e67, v40, -v82
	v_add_f32_e32 v63, v63, v73
	v_fma_f32 v73, 0x3f62ad3f, v83, -v84
	v_dual_mul_f32 v82, 0x3eedf032, v7 :: v_dual_add_f32 v47, v47, v61
	v_dual_add_f32 v61, v64, v62 :: v_dual_mul_f32 v62, 0xbf7e222b, v79
	s_delay_alu instid0(VALU_DEP_3) | instskip(NEXT) | instid1(VALU_DEP_3)
	v_add_f32_e32 v64, v73, v66
	v_fmamk_f32 v66, v40, 0x3f62ad3f, v82
	v_fmac_f32_e32 v84, 0x3f62ad3f, v83
	v_fma_f32 v73, 0x3f62ad3f, v40, -v82
	v_fma_f32 v82, 0x3df6dbef, v83, -v62
	s_delay_alu instid0(VALU_DEP_4) | instskip(NEXT) | instid1(VALU_DEP_3)
	v_dual_mul_f32 v85, 0xbf7e222b, v7 :: v_dual_add_f32 v66, v66, v69
	v_dual_add_f32 v69, v84, v70 :: v_dual_add_f32 v70, v73, v71
	s_delay_alu instid0(VALU_DEP_3) | instskip(SKIP_1) | instid1(VALU_DEP_4)
	v_dual_add_f32 v71, v82, v72 :: v_dual_fmac_f32 v62, 0x3df6dbef, v83
	v_mul_f32_e32 v82, 0x3e750f2a, v7
	v_fmamk_f32 v72, v40, 0x3df6dbef, v85
	v_mul_f32_e32 v73, 0x3e750f2a, v79
	v_mul_f32_e32 v79, 0x3f52af12, v79
	s_delay_alu instid0(VALU_DEP_4) | instskip(NEXT) | instid1(VALU_DEP_4)
	v_dual_add_f32 v62, v62, v67 :: v_dual_fmamk_f32 v67, v40, 0xbf788fa5, v82
	v_add_f32_e32 v68, v72, v68
	s_delay_alu instid0(VALU_DEP_4) | instskip(SKIP_4) | instid1(VALU_DEP_4)
	v_fma_f32 v72, 0xbf788fa5, v83, -v73
	v_fmac_f32_e32 v73, 0xbf788fa5, v83
	v_mul_f32_e32 v7, 0x3f52af12, v7
	v_add_f32_e32 v67, v67, v77
	v_fma_f32 v77, 0x3f116cb1, v83, -v79
	v_dual_add_f32 v72, v72, v74 :: v_dual_add_f32 v73, v73, v76
	v_sub_f32_e32 v76, v37, v39
	v_fma_f32 v74, 0xbf788fa5, v40, -v82
	s_delay_alu instid0(VALU_DEP_4) | instskip(SKIP_1) | instid1(VALU_DEP_4)
	v_add_f32_e32 v77, v77, v80
	v_add_f32_e32 v80, v21, v17
	v_dual_sub_f32 v17, v21, v17 :: v_dual_mul_f32 v82, 0xbf29c268, v76
	s_delay_alu instid0(VALU_DEP_4) | instskip(SKIP_1) | instid1(VALU_DEP_3)
	v_dual_add_f32 v21, v37, v39 :: v_dual_add_f32 v74, v74, v78
	v_fmamk_f32 v78, v40, 0x3f116cb1, v7
	v_mul_f32_e32 v39, 0xbf29c268, v17
	v_fmac_f32_e32 v86, 0xbf3f9e67, v88
	v_fmac_f32_e32 v79, 0x3f116cb1, v83
	v_fma_f32 v7, 0x3f116cb1, v40, -v7
	v_fma_f32 v37, 0xbf3f9e67, v80, -v82
	;; [unrolled: 1-line block ×3, first 2 shown]
	v_add_f32_e32 v75, v86, v75
	v_add_f32_e32 v40, v78, v57
	;; [unrolled: 1-line block ×4, first 2 shown]
	s_delay_alu instid0(VALU_DEP_4) | instskip(SKIP_3) | instid1(VALU_DEP_4)
	v_dual_fmamk_f32 v22, v21, 0xbf3f9e67, v39 :: v_dual_add_f32 v57, v79, v75
	v_mul_f32_e32 v37, 0x3f7e222b, v76
	v_fma_f32 v39, 0xbf3f9e67, v21, -v39
	v_mul_f32_e32 v75, 0x3f7e222b, v17
	v_add_f32_e32 v22, v22, v41
	v_mul_f32_e32 v78, 0xbf52af12, v76
	v_fma_f32 v41, 0x3df6dbef, v80, -v37
	s_delay_alu instid0(VALU_DEP_4) | instskip(SKIP_2) | instid1(VALU_DEP_4)
	v_dual_add_f32 v39, v39, v42 :: v_dual_fmamk_f32 v42, v21, 0x3df6dbef, v75
	v_fmac_f32_e32 v37, 0x3df6dbef, v80
	v_add_f32_e32 v81, v87, v81
	v_add_f32_e32 v41, v41, v59
	v_fma_f32 v59, 0x3df6dbef, v21, -v75
	v_add_f32_e32 v42, v42, v63
	v_fma_f32 v63, 0x3f116cb1, v80, -v78
	v_mul_f32_e32 v75, 0xbf52af12, v17
	v_add_f32_e32 v37, v37, v47
	v_add_f32_e32 v47, v59, v61
	v_mul_f32_e32 v59, 0x3e750f2a, v76
	v_add_f32_e32 v61, v63, v64
	v_dual_fmamk_f32 v63, v21, 0x3f116cb1, v75 :: v_dual_fmac_f32 v78, 0x3f116cb1, v80
	v_mul_f32_e32 v79, 0x3e750f2a, v17
	v_add_f32_e32 v81, v84, v81
	v_fma_f32 v64, 0x3f116cb1, v21, -v75
	v_fma_f32 v75, 0xbf788fa5, v80, -v59
	v_dual_add_f32 v63, v63, v66 :: v_dual_add_f32 v66, v78, v69
	v_fma_f32 v78, 0xbf788fa5, v21, -v79
	v_fmac_f32_e32 v59, 0xbf788fa5, v80
	s_delay_alu instid0(VALU_DEP_4)
	v_add_f32_e32 v69, v75, v71
	v_mul_f32_e32 v71, 0x3eedf032, v76
	v_mul_f32_e32 v75, 0x3eedf032, v17
	v_add_f32_e32 v78, v78, v81
	v_dual_mul_f32 v17, 0xbf6f5d39, v17 :: v_dual_add_f32 v64, v64, v70
	v_fmamk_f32 v70, v21, 0xbf788fa5, v79
	v_dual_mul_f32 v76, 0xbf6f5d39, v76 :: v_dual_add_f32 v59, v59, v62
	s_delay_alu instid0(VALU_DEP_2) | instskip(SKIP_2) | instid1(VALU_DEP_2)
	v_add_f32_e32 v68, v70, v68
	v_fma_f32 v70, 0x3f62ad3f, v80, -v71
	v_fmac_f32_e32 v71, 0x3f62ad3f, v80
	v_add_f32_e32 v70, v70, v72
	v_fma_f32 v72, 0xbeb58ec6, v80, -v76
	s_delay_alu instid0(VALU_DEP_3) | instskip(NEXT) | instid1(VALU_DEP_2)
	v_add_f32_e32 v71, v71, v73
	v_dual_sub_f32 v73, v35, v36 :: v_dual_add_f32 v72, v72, v77
	v_fmamk_f32 v62, v21, 0x3f62ad3f, v75
	s_delay_alu instid0(VALU_DEP_1) | instskip(SKIP_4) | instid1(VALU_DEP_4)
	v_dual_mul_f32 v77, 0xbe750f2a, v73 :: v_dual_add_f32 v62, v62, v67
	v_fma_f32 v67, 0x3f62ad3f, v21, -v75
	v_add_f32_e32 v75, v15, v16
	v_sub_f32_e32 v15, v15, v16
	v_fma_f32 v16, 0xbeb58ec6, v21, -v17
	v_dual_add_f32 v67, v67, v74 :: v_dual_fmamk_f32 v74, v21, 0xbeb58ec6, v17
	v_add_f32_e32 v17, v35, v36
	v_fma_f32 v21, 0xbf788fa5, v75, -v77
	s_delay_alu instid0(VALU_DEP_4) | instskip(NEXT) | instid1(VALU_DEP_4)
	v_dual_mul_f32 v35, 0xbe750f2a, v15 :: v_dual_add_f32 v6, v16, v6
	v_add_f32_e32 v36, v74, v40
	s_delay_alu instid0(VALU_DEP_3) | instskip(NEXT) | instid1(VALU_DEP_3)
	v_dual_mul_f32 v74, 0xbf29c268, v73 :: v_dual_add_f32 v7, v21, v7
	v_fmamk_f32 v16, v17, 0xbf788fa5, v35
	v_mul_f32_e32 v21, 0x3eedf032, v73
	v_fma_f32 v35, 0xbf788fa5, v17, -v35
	s_delay_alu instid0(VALU_DEP_3) | instskip(NEXT) | instid1(VALU_DEP_3)
	v_dual_fmac_f32 v77, 0xbf788fa5, v75 :: v_dual_add_f32 v16, v16, v22
	v_fma_f32 v22, 0x3f62ad3f, v75, -v21
	v_fmac_f32_e32 v21, 0x3f62ad3f, v75
	s_delay_alu instid0(VALU_DEP_4) | instskip(NEXT) | instid1(VALU_DEP_3)
	v_dual_fmac_f32 v76, 0xbeb58ec6, v80 :: v_dual_add_f32 v35, v35, v39
	v_add_f32_e32 v22, v22, v41
	s_delay_alu instid0(VALU_DEP_3) | instskip(NEXT) | instid1(VALU_DEP_3)
	v_add_f32_e32 v21, v21, v37
	v_dual_add_f32 v40, v76, v57 :: v_dual_mul_f32 v57, 0x3eedf032, v15
	v_mul_f32_e32 v76, 0x3f52af12, v15
	s_delay_alu instid0(VALU_DEP_2) | instskip(SKIP_1) | instid1(VALU_DEP_2)
	v_fmamk_f32 v39, v17, 0x3f62ad3f, v57
	v_fma_f32 v41, 0x3f62ad3f, v17, -v57
	v_add_f32_e32 v57, v39, v42
	v_fma_f32 v39, 0xbf3f9e67, v75, -v74
	v_mul_f32_e32 v42, 0xbf29c268, v15
	s_delay_alu instid0(VALU_DEP_4) | instskip(SKIP_1) | instid1(VALU_DEP_4)
	v_add_f32_e32 v37, v41, v47
	v_mul_f32_e32 v41, 0x3f52af12, v73
	v_dual_fmac_f32 v74, 0xbf3f9e67, v75 :: v_dual_add_f32 v39, v39, v61
	s_delay_alu instid0(VALU_DEP_4) | instskip(SKIP_1) | instid1(VALU_DEP_4)
	v_fmamk_f32 v47, v17, 0xbf3f9e67, v42
	v_fma_f32 v42, 0xbf3f9e67, v17, -v42
	v_fma_f32 v61, 0x3f116cb1, v75, -v41
	v_fmac_f32_e32 v82, 0xbf3f9e67, v80
	v_fmac_f32_e32 v41, 0x3f116cb1, v75
	s_delay_alu instid0(VALU_DEP_4) | instskip(NEXT) | instid1(VALU_DEP_4)
	v_dual_add_f32 v47, v47, v63 :: v_dual_add_f32 v64, v42, v64
	v_add_f32_e32 v42, v61, v69
	v_fmamk_f32 v61, v17, 0x3f116cb1, v76
	v_mul_f32_e32 v69, 0xbf6f5d39, v15
	v_dual_add_f32 v63, v74, v66 :: v_dual_mul_f32 v66, 0xbf6f5d39, v73
	v_fma_f32 v74, 0x3f116cb1, v17, -v76
	v_mul_f32_e32 v73, 0x3f7e222b, v73
	v_add_f32_e32 v61, v61, v68
	v_fmamk_f32 v76, v17, 0xbeb58ec6, v69
	v_fma_f32 v68, 0xbeb58ec6, v75, -v66
	v_add_f32_e32 v41, v41, v59
	v_fmac_f32_e32 v66, 0xbeb58ec6, v75
	v_fma_f32 v69, 0xbeb58ec6, v17, -v69
	v_mul_f32_e32 v15, 0x3f7e222b, v15
	v_add_f32_e32 v59, v74, v78
	v_add_f32_e32 v68, v68, v70
	v_fma_f32 v70, 0x3df6dbef, v75, -v73
	v_lshrrev_b32_e32 v74, 1, v2
	v_add_f32_e32 v66, v66, v71
	v_add_f32_e32 v67, v69, v67
	v_fmac_f32_e32 v73, 0x3df6dbef, v75
	v_dual_add_f32 v69, v70, v72 :: v_dual_fmamk_f32 v70, v17, 0x3df6dbef, v15
	v_mul_u32_u24_e32 v71, 26, v74
	v_fma_f32 v15, 0x3df6dbef, v17, -v15
	v_lshrrev_b32_e32 v17, 1, v33
	v_add_f32_e32 v65, v82, v65
	v_add_f32_e32 v36, v70, v36
	v_or_b32_e32 v70, v71, v34
	v_add_f32_e32 v15, v15, v6
	v_mul_u32_u24_e32 v6, 26, v17
	v_add_f32_e32 v40, v73, v40
	v_add_f32_e32 v65, v77, v65
	v_lshl_add_u32 v17, v70, 2, 0
	ds_store_2addr_b32 v17, v3, v8 offset1:2
	ds_store_2addr_b32 v17, v27, v29 offset0:4 offset1:6
	ds_store_2addr_b32 v17, v45, v50 offset0:8 offset1:10
	v_or_b32_e32 v6, v6, v34
	s_delay_alu instid0(VALU_DEP_1)
	v_lshl_add_u32 v27, v6, 2, 0
	ds_store_2addr_b32 v17, v56, v58 offset0:12 offset1:14
	ds_store_2addr_b32 v17, v51, v43 offset0:16 offset1:18
	ds_store_2addr_b32 v17, v30, v28 offset0:20 offset1:22
	ds_store_b32 v17, v5 offset:96
	ds_store_2addr_b32 v27, v4, v7 offset1:2
	ds_store_2addr_b32 v27, v22, v39 offset0:4 offset1:6
	ds_store_2addr_b32 v27, v42, v68 offset0:8 offset1:10
	;; [unrolled: 1-line block ×5, first 2 shown]
	ds_store_b32 v27, v65 offset:96
	global_wb scope:SCOPE_SE
	s_wait_dscnt 0x0
	s_barrier_signal -1
	s_barrier_wait -1
	global_inv scope:SCOPE_SE
	ds_load_2addr_b32 v[3:4], v53 offset1:52
	ds_load_2addr_b32 v[29:30], v53 offset0:104 offset1:156
	ds_load_2addr_b32 v[39:40], v44 offset0:80 offset1:132
	;; [unrolled: 1-line block ×12, first 2 shown]
	global_wb scope:SCOPE_SE
	s_wait_dscnt 0x0
	s_barrier_signal -1
	s_barrier_wait -1
	global_inv scope:SCOPE_SE
	ds_store_2addr_b32 v17, v9, v26 offset1:2
	v_and_b32_e32 v9, 0xff, v33
	ds_store_2addr_b32 v17, v12, v13 offset0:4 offset1:6
	ds_store_2addr_b32 v17, v18, v20 offset0:8 offset1:10
	;; [unrolled: 1-line block ×3, first 2 shown]
	v_subrev_nc_u32_e32 v56, 26, v2
	ds_store_2addr_b32 v17, v23, v19 offset0:16 offset1:18
	ds_store_2addr_b32 v17, v14, v11 offset0:20 offset1:22
	v_add_f32_e32 v62, v76, v62
	v_mul_lo_u16 v9, 0x4f, v9
	ds_store_b32 v17, v10 offset:96
	ds_store_2addr_b32 v27, v60, v16 offset1:2
	ds_store_2addr_b32 v27, v57, v47 offset0:4 offset1:6
	s_wait_alu 0xf1ff
	v_cndmask_b32_e64 v12, v56, v2, s0
	v_mov_b32_e32 v10, 0
	ds_store_2addr_b32 v27, v61, v62 offset0:8 offset1:10
	ds_store_2addr_b32 v27, v36, v15 offset0:12 offset1:14
	;; [unrolled: 1-line block ×3, first 2 shown]
	v_lshrrev_b16 v11, 11, v9
	ds_store_2addr_b32 v27, v64, v37 offset0:20 offset1:22
	ds_store_b32 v27, v35 offset:96
	v_mul_i32_i24_e32 v9, 12, v12
	global_wb scope:SCOPE_SE
	s_wait_dscnt 0x0
	s_barrier_signal -1
	v_mul_lo_u16 v13, v11, 26
	s_barrier_wait -1
	global_inv scope:SCOPE_SE
	v_lshlrev_b32_e32 v12, 2, v12
	v_and_b32_e32 v11, 0xffff, v11
	v_sub_nc_u16 v15, v33, v13
	v_lshlrev_b64_e32 v[13:14], 3, v[9:10]
	s_delay_alu instid0(VALU_DEP_3) | instskip(NEXT) | instid1(VALU_DEP_3)
	v_mul_u32_u24_e32 v11, 0x548, v11
	v_and_b32_e32 v9, 0xff, v15
	s_delay_alu instid0(VALU_DEP_3) | instskip(SKIP_1) | instid1(VALU_DEP_4)
	v_add_co_u32 v50, s1, s4, v13
	s_wait_alu 0xf1ff
	v_add_co_ci_u32_e64 v51, s1, s5, v14, s1
	s_delay_alu instid0(VALU_DEP_3)
	v_mul_u32_u24_e32 v10, 12, v9
	v_cmp_lt_u32_e64 s1, 25, v2
	v_lshlrev_b32_e32 v9, 2, v9
	global_load_b128 v[13:16], v[50:51], off offset:192
	v_lshlrev_b32_e32 v10, 3, v10
	s_clause 0xa
	global_load_b128 v[17:20], v10, s[4:5] offset:192
	global_load_b128 v[21:24], v[50:51], off offset:208
	global_load_b128 v[25:28], v[50:51], off offset:224
	;; [unrolled: 1-line block ×3, first 2 shown]
	global_load_b128 v[64:67], v10, s[4:5] offset:208
	global_load_b128 v[88:91], v[50:51], off offset:256
	global_load_b128 v[92:95], v[50:51], off offset:272
	global_load_b128 v[96:99], v10, s[4:5] offset:224
	global_load_b128 v[100:103], v10, s[4:5] offset:240
	;; [unrolled: 1-line block ×4, first 2 shown]
	ds_load_2addr_b32 v[50:51], v53 offset0:104 offset1:156
	ds_load_2addr_b32 v[58:59], v44 offset0:80 offset1:132
	;; [unrolled: 1-line block ×5, first 2 shown]
	s_wait_loadcnt 0xa
	v_mul_f32_e32 v57, v30, v18
	v_mul_f32_e32 v45, v40, v20
	s_wait_loadcnt 0x9
	v_mul_f32_e32 v74, v69, v24
	s_wait_dscnt 0x4
	v_mul_f32_e32 v10, v50, v14
	s_wait_dscnt 0x3
	v_mul_f32_e32 v37, v58, v16
	v_fmac_f32_e32 v57, v51, v17
	v_fmac_f32_e32 v45, v59, v19
	s_wait_loadcnt 0x4
	v_mul_f32_e32 v83, v5, v95
	v_fma_f32 v87, v29, v13, -v10
	s_wait_loadcnt 0x1
	v_mul_f32_e32 v41, v121, v105
	v_mul_f32_e32 v86, v29, v14
	;; [unrolled: 1-line block ×3, first 2 shown]
	v_fma_f32 v85, v39, v15, -v37
	v_mul_f32_e32 v62, v116, v34
	v_mul_f32_e32 v72, v118, v36
	v_fmac_f32_e32 v86, v50, v13
	ds_load_2addr_b32 v[13:14], v46 offset0:8 offset1:60
	v_mul_f32_e32 v10, v51, v18
	v_mul_f32_e32 v18, v59, v20
	;; [unrolled: 1-line block ×4, first 2 shown]
	s_wait_dscnt 0x2
	v_mul_f32_e32 v20, v80, v24
	v_fmac_f32_e32 v78, v75, v21
	v_fma_f32 v50, v40, v19, -v18
	s_wait_dscnt 0x1
	v_dual_mul_f32 v19, v124, v28 :: v_dual_fmac_f32 v82, v58, v15
	v_fma_f32 v58, v30, v17, -v10
	ds_load_2addr_b32 v[17:18], v48 offset0:64 offset1:116
	v_mul_f32_e32 v10, v75, v22
	ds_load_2addr_b32 v[15:16], v32 offset0:88 offset1:140
	v_fma_f32 v75, v69, v23, -v20
	v_mul_f32_e32 v69, v112, v26
	v_fma_f32 v61, v114, v27, -v19
	v_fma_f32 v79, v42, v21, -v10
	ds_load_2addr_b32 v[21:22], v49 offset0:16 offset1:68
	ds_load_2addr_b32 v[19:20], v48 offset0:168 offset1:220
	s_wait_dscnt 0x4
	v_mul_f32_e32 v10, v13, v26
	v_fmac_f32_e32 v69, v13, v25
	v_dual_mul_f32 v39, v70, v67 :: v_dual_mul_f32 v42, v43, v65
	v_mul_f32_e32 v84, v7, v93
	s_delay_alu instid0(VALU_DEP_4)
	v_fma_f32 v71, v112, v25, -v10
	ds_load_2addr_b32 v[25:26], v31 offset0:96 offset1:148
	v_dual_fmac_f32 v39, v81, v66 :: v_dual_fmac_f32 v42, v76, v64
	s_wait_loadcnt 0x0
	v_dual_mul_f32 v68, v6, v111 :: v_dual_mul_f32 v31, v117, v101
	s_wait_dscnt 0x4
	v_dual_mul_f32 v13, v17, v36 :: v_dual_mul_f32 v36, v119, v103
	s_wait_dscnt 0x3
	v_mul_f32_e32 v10, v15, v34
	v_fmac_f32_e32 v62, v15, v33
	v_add_f32_e32 v15, v3, v87
	v_fma_f32 v73, v118, v35, -v13
	v_mul_f32_e32 v13, v81, v67
	v_fma_f32 v63, v116, v33, -v10
	v_mul_f32_e32 v10, v76, v65
	v_mul_f32_e32 v76, v120, v89
	;; [unrolled: 1-line block ×3, first 2 shown]
	v_fma_f32 v40, v70, v66, -v13
	s_wait_dscnt 0x2
	v_mul_f32_e32 v13, v21, v91
	v_fma_f32 v43, v43, v64, -v10
	s_wait_dscnt 0x0
	v_dual_mul_f32 v10, v19, v89 :: v_dual_fmac_f32 v83, v25, v94
	v_fmac_f32_e32 v76, v19, v88
	v_fma_f32 v81, v122, v90, -v13
	v_mul_f32_e32 v13, v25, v95
	s_delay_alu instid0(VALU_DEP_4)
	v_fma_f32 v77, v120, v88, -v10
	v_fmac_f32_e32 v34, v14, v96
	v_fmac_f32_e32 v51, v22, v106
	;; [unrolled: 1-line block ×3, first 2 shown]
	v_fma_f32 v89, v5, v94, -v13
	v_mul_f32_e32 v5, v125, v99
	v_fmac_f32_e32 v31, v16, v100
	v_mul_f32_e32 v64, v8, v109
	s_delay_alu instid0(VALU_DEP_4) | instskip(NEXT) | instid1(VALU_DEP_4)
	v_dual_fmac_f32 v36, v18, v102 :: v_dual_add_f32 v13, v87, v89
	v_fma_f32 v32, v115, v98, -v5
	v_dual_mul_f32 v5, v20, v105 :: v_dual_fmac_f32 v68, v26, v110
	v_add_f32_e32 v15, v15, v85
	s_delay_alu instid0(VALU_DEP_2)
	v_fma_f32 v47, v121, v104, -v5
	v_sub_f32_e32 v5, v86, v83
	v_fmac_f32_e32 v74, v80, v23
	ds_load_2addr_b32 v[23:24], v49 offset0:120 offset1:172
	v_add_f32_e32 v15, v15, v79
	v_dual_mul_f32 v19, 0xbf29c268, v5 :: v_dual_mul_f32 v60, v114, v28
	s_delay_alu instid0(VALU_DEP_2) | instskip(NEXT) | instid1(VALU_DEP_1)
	v_add_f32_e32 v15, v15, v75
	v_add_f32_e32 v15, v15, v71
	s_delay_alu instid0(VALU_DEP_1) | instskip(SKIP_2) | instid1(VALU_DEP_2)
	v_add_f32_e32 v15, v15, v61
	s_wait_dscnt 0x0
	v_mul_f32_e32 v10, v23, v93
	v_dual_fmac_f32 v64, v24, v108 :: v_dual_add_f32 v15, v15, v63
	s_delay_alu instid0(VALU_DEP_2) | instskip(SKIP_4) | instid1(VALU_DEP_4)
	v_fma_f32 v88, v7, v92, -v10
	v_mul_f32_e32 v10, v18, v103
	v_mul_f32_e32 v7, v14, v97
	;; [unrolled: 1-line block ×3, first 2 shown]
	v_add_f32_e32 v15, v15, v73
	v_fma_f32 v37, v119, v102, -v10
	s_delay_alu instid0(VALU_DEP_2) | instskip(NEXT) | instid1(VALU_DEP_1)
	v_dual_mul_f32 v10, v26, v111 :: v_dual_add_f32 v15, v15, v77
	v_fma_f32 v70, v6, v110, -v10
	v_fma_f32 v6, 0x3f62ad3f, v13, -v14
	v_fmac_f32_e32 v14, 0x3f62ad3f, v13
	v_mul_f32_e32 v10, 0xbf7e222b, v5
	s_delay_alu instid0(VALU_DEP_3)
	v_add_f32_e32 v6, v3, v6
	v_fmac_f32_e32 v72, v17, v35
	v_fma_f32 v35, v113, v96, -v7
	v_mul_f32_e32 v7, v16, v101
	v_mul_f32_e32 v16, 0xbf6f5d39, v5
	v_add_f32_e32 v14, v3, v14
	v_fma_f32 v17, 0x3df6dbef, v13, -v10
	v_fmac_f32_e32 v10, 0x3df6dbef, v13
	v_fma_f32 v33, v117, v100, -v7
	v_dual_mul_f32 v7, v22, v107 :: v_dual_add_f32 v22, v85, v88
	v_fmac_f32_e32 v84, v23, v92
	v_mul_f32_e32 v80, v122, v91
	v_fma_f32 v18, 0xbeb58ec6, v13, -v16
	s_delay_alu instid0(VALU_DEP_4) | instskip(NEXT) | instid1(VALU_DEP_4)
	v_fma_f32 v59, v123, v106, -v7
	v_dual_mul_f32 v7, v24, v109 :: v_dual_sub_f32 v20, v82, v84
	s_delay_alu instid0(VALU_DEP_4) | instskip(SKIP_2) | instid1(VALU_DEP_4)
	v_fmac_f32_e32 v80, v21, v90
	v_fma_f32 v21, 0xbf3f9e67, v13, -v19
	v_fmac_f32_e32 v19, 0xbf3f9e67, v13
	v_fma_f32 v65, v8, v108, -v7
	v_mul_f32_e32 v7, 0xbf52af12, v5
	v_mul_f32_e32 v5, 0xbe750f2a, v5
	;; [unrolled: 1-line block ×3, first 2 shown]
	v_fmac_f32_e32 v16, 0xbeb58ec6, v13
	v_mul_f32_e32 v25, 0xbf6f5d39, v20
	v_fma_f32 v8, 0x3f116cb1, v13, -v7
	v_fmac_f32_e32 v7, 0x3f116cb1, v13
	v_fma_f32 v24, 0xbf788fa5, v13, -v5
	v_fmac_f32_e32 v5, 0xbf788fa5, v13
	v_add_f32_e32 v13, v3, v19
	v_fma_f32 v19, 0x3f116cb1, v22, -v23
	v_dual_fmac_f32 v23, 0x3f116cb1, v22 :: v_dual_fmac_f32 v60, v124, v27
	v_add_f32_e32 v21, v3, v21
	v_add_f32_e32 v8, v3, v8
	;; [unrolled: 1-line block ×10, first 2 shown]
	v_fma_f32 v6, 0xbeb58ec6, v22, -v25
	v_mul_f32_e32 v19, 0xbe750f2a, v20
	v_fmac_f32_e32 v25, 0xbeb58ec6, v22
	v_dual_add_f32 v14, v23, v14 :: v_dual_mul_f32 v23, 0x3f29c268, v20
	s_delay_alu instid0(VALU_DEP_4) | instskip(NEXT) | instid1(VALU_DEP_4)
	v_add_f32_e32 v6, v6, v8
	v_fma_f32 v8, 0xbf788fa5, v22, -v19
	s_delay_alu instid0(VALU_DEP_4) | instskip(SKIP_2) | instid1(VALU_DEP_4)
	v_add_f32_e32 v7, v25, v7
	v_fmac_f32_e32 v19, 0xbf788fa5, v22
	v_fma_f32 v25, 0xbf3f9e67, v22, -v23
	v_dual_fmac_f32 v23, 0xbf3f9e67, v22 :: v_dual_add_f32 v8, v8, v17
	s_delay_alu instid0(VALU_DEP_3) | instskip(NEXT) | instid1(VALU_DEP_3)
	v_dual_mul_f32 v17, 0x3f7e222b, v20 :: v_dual_add_f32 v10, v19, v10
	v_dual_add_f32 v18, v25, v18 :: v_dual_add_f32 v25, v79, v81
	v_sub_f32_e32 v19, v78, v80
	s_delay_alu instid0(VALU_DEP_4) | instskip(NEXT) | instid1(VALU_DEP_4)
	v_add_f32_e32 v16, v23, v16
	v_fma_f32 v23, 0x3df6dbef, v22, -v17
	v_mul_f32_e32 v20, 0x3eedf032, v20
	v_fmac_f32_e32 v17, 0x3df6dbef, v22
	v_mul_f32_e32 v26, 0xbf7e222b, v19
	v_mul_f32_e32 v30, v115, v99
	v_add_f32_e32 v21, v23, v21
	v_fma_f32 v23, 0x3f62ad3f, v22, -v20
	v_dual_add_f32 v13, v17, v13 :: v_dual_fmac_f32 v20, 0x3f62ad3f, v22
	v_fma_f32 v17, 0x3df6dbef, v25, -v26
	v_mul_f32_e32 v22, 0xbe750f2a, v19
	s_delay_alu instid0(VALU_DEP_4) | instskip(NEXT) | instid1(VALU_DEP_4)
	v_dual_fmac_f32 v30, v125, v98 :: v_dual_add_f32 v23, v23, v24
	v_add_f32_e32 v3, v20, v3
	s_delay_alu instid0(VALU_DEP_4) | instskip(NEXT) | instid1(VALU_DEP_4)
	v_add_f32_e32 v5, v17, v5
	v_fma_f32 v17, 0xbf788fa5, v25, -v22
	v_mul_f32_e32 v20, 0x3f6f5d39, v19
	v_fmac_f32_e32 v22, 0xbf788fa5, v25
	v_mul_f32_e32 v24, 0x3eedf032, v19
	v_fmac_f32_e32 v26, 0x3df6dbef, v25
	v_add_f32_e32 v6, v17, v6
	v_fma_f32 v17, 0xbeb58ec6, v25, -v20
	v_dual_fmac_f32 v20, 0xbeb58ec6, v25 :: v_dual_add_f32 v7, v22, v7
	v_fma_f32 v22, 0x3f62ad3f, v25, -v24
	v_fmac_f32_e32 v24, 0x3f62ad3f, v25
	s_delay_alu instid0(VALU_DEP_4) | instskip(NEXT) | instid1(VALU_DEP_4)
	v_dual_add_f32 v8, v17, v8 :: v_dual_mul_f32 v17, 0xbf52af12, v19
	v_add_f32_e32 v10, v20, v10
	v_sub_f32_e32 v20, v74, v76
	v_add_f32_e32 v14, v26, v14
	v_add_f32_e32 v18, v22, v18
	;; [unrolled: 1-line block ×3, first 2 shown]
	v_fma_f32 v22, 0x3f116cb1, v25, -v17
	v_mul_f32_e32 v19, 0xbf29c268, v19
	v_fmac_f32_e32 v17, 0x3f116cb1, v25
	v_add_f32_e32 v24, v75, v77
	s_delay_alu instid0(VALU_DEP_4) | instskip(NEXT) | instid1(VALU_DEP_4)
	v_dual_mul_f32 v26, 0xbf6f5d39, v20 :: v_dual_add_f32 v21, v22, v21
	v_fma_f32 v22, 0xbf3f9e67, v25, -v19
	v_fmac_f32_e32 v19, 0xbf3f9e67, v25
	v_add_f32_e32 v13, v17, v13
	s_delay_alu instid0(VALU_DEP_4) | instskip(NEXT) | instid1(VALU_DEP_4)
	v_fma_f32 v17, 0xbeb58ec6, v24, -v26
	v_dual_mul_f32 v25, 0x3f29c268, v20 :: v_dual_add_f32 v22, v22, v23
	s_delay_alu instid0(VALU_DEP_4) | instskip(SKIP_1) | instid1(VALU_DEP_4)
	v_add_f32_e32 v3, v19, v3
	v_mul_f32_e32 v19, 0x3eedf032, v20
	v_add_f32_e32 v5, v17, v5
	s_delay_alu instid0(VALU_DEP_4)
	v_fma_f32 v17, 0xbf3f9e67, v24, -v25
	v_fmac_f32_e32 v25, 0xbf3f9e67, v24
	v_mul_f32_e32 v23, 0xbf7e222b, v20
	v_fmac_f32_e32 v26, 0xbeb58ec6, v24
	v_sub_f32_e32 v91, v45, v64
	v_add_f32_e32 v6, v17, v6
	v_fma_f32 v17, 0x3f62ad3f, v24, -v19
	v_fmac_f32_e32 v19, 0x3f62ad3f, v24
	v_add_f32_e32 v7, v25, v7
	v_fma_f32 v25, 0x3df6dbef, v24, -v23
	v_fmac_f32_e32 v23, 0x3df6dbef, v24
	v_add_f32_e32 v8, v17, v8
	v_dual_mul_f32 v17, 0x3e750f2a, v20 :: v_dual_add_f32 v10, v19, v10
	v_dual_sub_f32 v19, v69, v72 :: v_dual_add_f32 v14, v26, v14
	s_delay_alu instid0(VALU_DEP_4) | instskip(NEXT) | instid1(VALU_DEP_3)
	v_add_f32_e32 v16, v23, v16
	v_fma_f32 v23, 0xbf788fa5, v24, -v17
	v_mul_f32_e32 v20, 0x3f52af12, v20
	s_delay_alu instid0(VALU_DEP_4)
	v_mul_f32_e32 v26, 0xbf29c268, v19
	v_dual_add_f32 v18, v25, v18 :: v_dual_fmac_f32 v17, 0xbf788fa5, v24
	v_add_f32_e32 v25, v71, v73
	v_add_f32_e32 v21, v23, v21
	v_fma_f32 v23, 0x3f116cb1, v24, -v20
	v_dual_fmac_f32 v20, 0x3f116cb1, v24 :: v_dual_add_f32 v93, v50, v65
	v_dual_mul_f32 v94, 0xbf52af12, v91 :: v_dual_add_f32 v13, v17, v13
	v_fma_f32 v17, 0xbf3f9e67, v25, -v26
	s_delay_alu instid0(VALU_DEP_3) | instskip(NEXT) | instid1(VALU_DEP_3)
	v_dual_add_f32 v22, v23, v22 :: v_dual_add_f32 v3, v20, v3
	v_fma_f32 v95, 0x3f116cb1, v93, -v94
	s_delay_alu instid0(VALU_DEP_3) | instskip(SKIP_3) | instid1(VALU_DEP_4)
	v_dual_mul_f32 v24, 0x3f7e222b, v19 :: v_dual_add_f32 v5, v17, v5
	v_mul_f32_e32 v20, 0xbf52af12, v19
	v_mul_f32_e32 v23, 0x3e750f2a, v19
	v_fmac_f32_e32 v94, 0x3f116cb1, v93
	v_fma_f32 v17, 0x3df6dbef, v25, -v24
	v_fmac_f32_e32 v24, 0x3df6dbef, v25
	v_fmac_f32_e32 v26, 0xbf3f9e67, v25
	s_delay_alu instid0(VALU_DEP_3) | instskip(SKIP_1) | instid1(VALU_DEP_4)
	v_add_f32_e32 v6, v17, v6
	v_fma_f32 v17, 0x3f116cb1, v25, -v20
	v_dual_fmac_f32 v20, 0x3f116cb1, v25 :: v_dual_add_f32 v7, v24, v7
	v_fma_f32 v24, 0xbf788fa5, v25, -v23
	s_delay_alu instid0(VALU_DEP_3) | instskip(NEXT) | instid1(VALU_DEP_3)
	v_dual_fmac_f32 v23, 0xbf788fa5, v25 :: v_dual_add_f32 v8, v17, v8
	v_dual_add_f32 v10, v20, v10 :: v_dual_mul_f32 v17, 0x3eedf032, v19
	v_add_f32_e32 v14, v26, v14
	s_delay_alu instid0(VALU_DEP_3)
	v_dual_add_f32 v20, v23, v16 :: v_dual_sub_f32 v23, v60, v62
	v_add_f32_e32 v18, v24, v18
	v_mul_f32_e32 v16, 0xbf6f5d39, v19
	v_fma_f32 v19, 0x3f62ad3f, v25, -v17
	v_dual_fmac_f32 v17, 0x3f62ad3f, v25 :: v_dual_add_f32 v24, v61, v63
	v_mul_f32_e32 v26, 0xbe750f2a, v23
	s_delay_alu instid0(VALU_DEP_4) | instskip(NEXT) | instid1(VALU_DEP_4)
	v_fma_f32 v27, 0xbeb58ec6, v25, -v16
	v_add_f32_e32 v21, v19, v21
	v_fmac_f32_e32 v16, 0xbeb58ec6, v25
	v_add_f32_e32 v13, v17, v13
	v_fma_f32 v17, 0xbf788fa5, v24, -v26
	v_mul_f32_e32 v19, 0x3eedf032, v23
	v_fmac_f32_e32 v26, 0xbf788fa5, v24
	v_mul_f32_e32 v25, 0xbf29c268, v23
	s_delay_alu instid0(VALU_DEP_4) | instskip(NEXT) | instid1(VALU_DEP_4)
	v_dual_add_f32 v3, v16, v3 :: v_dual_add_f32 v16, v17, v5
	v_fma_f32 v17, 0x3f62ad3f, v24, -v19
	v_fmac_f32_e32 v19, 0x3f62ad3f, v24
	v_dual_add_f32 v5, v26, v14 :: v_dual_mul_f32 v14, 0x3f52af12, v23
	v_fma_f32 v26, 0xbf3f9e67, v24, -v25
	v_dual_fmac_f32 v25, 0xbf3f9e67, v24 :: v_dual_add_f32 v22, v27, v22
	s_delay_alu instid0(VALU_DEP_4) | instskip(NEXT) | instid1(VALU_DEP_4)
	v_dual_add_f32 v17, v17, v6 :: v_dual_add_f32 v6, v19, v7
	v_fma_f32 v27, 0x3f116cb1, v24, -v14
	s_delay_alu instid0(VALU_DEP_4) | instskip(SKIP_4) | instid1(VALU_DEP_4)
	v_add_f32_e32 v19, v26, v8
	v_fmac_f32_e32 v14, 0x3f116cb1, v24
	v_dual_mul_f32 v26, 0xbf6f5d39, v23 :: v_dual_add_f32 v7, v25, v10
	v_mul_f32_e32 v23, 0x3f7e222b, v23
	v_sub_f32_e32 v25, v57, v68
	v_add_f32_e32 v8, v14, v20
	s_delay_alu instid0(VALU_DEP_4)
	v_fma_f32 v10, 0xbeb58ec6, v24, -v26
	v_fmac_f32_e32 v26, 0xbeb58ec6, v24
	v_fma_f32 v14, 0x3df6dbef, v24, -v23
	v_dual_fmac_f32 v23, 0x3df6dbef, v24 :: v_dual_add_f32 v24, v58, v70
	v_dual_mul_f32 v67, 0xbf29c268, v25 :: v_dual_add_f32 v18, v27, v18
	v_mul_f32_e32 v27, 0xbeedf032, v25
	v_add_f32_e32 v20, v10, v21
	v_add_f32_e32 v10, v26, v13
	v_dual_add_f32 v13, v14, v22 :: v_dual_add_f32 v14, v23, v3
	v_mul_f32_e32 v22, 0xbf52af12, v25
	v_mul_f32_e32 v23, 0xbf7e222b, v25
	;; [unrolled: 1-line block ×4, first 2 shown]
	v_fma_f32 v90, 0xbf3f9e67, v24, -v67
	v_fma_f32 v21, 0x3f62ad3f, v24, -v27
	v_fmac_f32_e32 v27, 0x3f62ad3f, v24
	v_fma_f32 v26, 0x3f116cb1, v24, -v22
	v_fmac_f32_e32 v22, 0x3f116cb1, v24
	;; [unrolled: 2-line block ×4, first 2 shown]
	v_fmac_f32_e32 v67, 0xbf3f9e67, v24
	v_fma_f32 v92, 0xbf788fa5, v24, -v25
	v_dual_fmac_f32 v25, 0xbf788fa5, v24 :: v_dual_add_f32 v24, v4, v90
	v_dual_mul_f32 v90, 0xbf6f5d39, v91 :: v_dual_add_f32 v3, v4, v58
	v_add_f32_e32 v21, v4, v21
	v_add_f32_e32 v27, v4, v27
	;; [unrolled: 1-line block ×11, first 2 shown]
	v_fma_f32 v25, 0xbeb58ec6, v93, -v90
	v_add_f32_e32 v21, v95, v21
	v_fmac_f32_e32 v90, 0xbeb58ec6, v93
	v_mul_f32_e32 v95, 0xbe750f2a, v91
	v_add_f32_e32 v27, v94, v27
	v_dual_add_f32 v25, v25, v26 :: v_dual_mul_f32 v26, 0x3f29c268, v91
	s_delay_alu instid0(VALU_DEP_4) | instskip(NEXT) | instid1(VALU_DEP_4)
	v_add_f32_e32 v22, v90, v22
	v_fma_f32 v90, 0xbf788fa5, v93, -v95
	v_mul_f32_e32 v94, 0x3f7e222b, v91
	v_fmac_f32_e32 v95, 0xbf788fa5, v93
	v_fma_f32 v96, 0xbf3f9e67, v93, -v26
	v_fmac_f32_e32 v26, 0xbf3f9e67, v93
	v_add_f32_e32 v28, v90, v28
	v_fma_f32 v90, 0x3df6dbef, v93, -v94
	v_mul_f32_e32 v91, 0x3eedf032, v91
	s_delay_alu instid0(VALU_DEP_4) | instskip(SKIP_1) | instid1(VALU_DEP_4)
	v_dual_add_f32 v23, v95, v23 :: v_dual_add_f32 v26, v26, v29
	v_dual_sub_f32 v29, v42, v51 :: v_dual_add_f32 v66, v96, v66
	v_add_f32_e32 v24, v90, v24
	v_fmac_f32_e32 v94, 0x3df6dbef, v93
	s_delay_alu instid0(VALU_DEP_3)
	v_dual_add_f32 v90, v43, v59 :: v_dual_mul_f32 v95, 0xbf7e222b, v29
	v_fma_f32 v96, 0x3f62ad3f, v93, -v91
	v_fmac_f32_e32 v91, 0x3f62ad3f, v93
	v_mul_f32_e32 v93, 0xbe750f2a, v29
	v_add_f32_e32 v67, v94, v67
	v_fma_f32 v94, 0x3df6dbef, v90, -v95
	s_delay_alu instid0(VALU_DEP_4) | instskip(NEXT) | instid1(VALU_DEP_4)
	v_dual_fmac_f32 v95, 0x3df6dbef, v90 :: v_dual_add_f32 v4, v91, v4
	v_fma_f32 v91, 0xbf788fa5, v90, -v93
	v_fmac_f32_e32 v93, 0xbf788fa5, v90
	s_delay_alu instid0(VALU_DEP_4) | instskip(SKIP_1) | instid1(VALU_DEP_4)
	v_add_f32_e32 v21, v94, v21
	v_mul_f32_e32 v94, 0x3f6f5d39, v29
	v_dual_add_f32 v92, v96, v92 :: v_dual_add_f32 v25, v91, v25
	v_mul_f32_e32 v91, 0x3eedf032, v29
	v_dual_add_f32 v27, v95, v27 :: v_dual_add_f32 v22, v93, v22
	s_delay_alu instid0(VALU_DEP_4) | instskip(SKIP_1) | instid1(VALU_DEP_4)
	v_fma_f32 v93, 0xbeb58ec6, v90, -v94
	v_mul_f32_e32 v95, 0xbf52af12, v29
	v_fma_f32 v96, 0x3f62ad3f, v90, -v91
	v_fmac_f32_e32 v91, 0x3f62ad3f, v90
	v_fmac_f32_e32 v94, 0xbeb58ec6, v90
	v_add_f32_e32 v28, v93, v28
	v_fma_f32 v93, 0x3f116cb1, v90, -v95
	s_delay_alu instid0(VALU_DEP_4) | instskip(SKIP_1) | instid1(VALU_DEP_3)
	v_dual_mul_f32 v29, 0xbf29c268, v29 :: v_dual_add_f32 v26, v91, v26
	v_sub_f32_e32 v91, v39, v41
	v_dual_add_f32 v23, v94, v23 :: v_dual_add_f32 v24, v93, v24
	v_fmac_f32_e32 v95, 0x3f116cb1, v90
	v_add_f32_e32 v93, v40, v47
	s_delay_alu instid0(VALU_DEP_4)
	v_dual_mul_f32 v94, 0xbf6f5d39, v91 :: v_dual_add_f32 v3, v3, v50
	v_add_f32_e32 v66, v96, v66
	v_fma_f32 v96, 0xbf3f9e67, v90, -v29
	v_fmac_f32_e32 v29, 0xbf3f9e67, v90
	v_add_f32_e32 v67, v95, v67
	v_mul_f32_e32 v90, 0x3f29c268, v91
	v_fma_f32 v95, 0xbeb58ec6, v93, -v94
	v_fmac_f32_e32 v94, 0xbeb58ec6, v93
	v_dual_add_f32 v4, v29, v4 :: v_dual_add_f32 v3, v3, v43
	s_delay_alu instid0(VALU_DEP_4) | instskip(NEXT) | instid1(VALU_DEP_4)
	v_fma_f32 v29, 0xbf3f9e67, v93, -v90
	v_add_f32_e32 v21, v95, v21
	v_fmac_f32_e32 v90, 0xbf3f9e67, v93
	v_mul_f32_e32 v95, 0x3eedf032, v91
	v_add_f32_e32 v27, v94, v27
	v_dual_mul_f32 v94, 0x3e750f2a, v91 :: v_dual_add_f32 v3, v3, v40
	s_delay_alu instid0(VALU_DEP_4) | instskip(NEXT) | instid1(VALU_DEP_4)
	v_add_f32_e32 v22, v90, v22
	v_fma_f32 v90, 0x3f62ad3f, v93, -v95
	v_add_f32_e32 v25, v29, v25
	v_mul_f32_e32 v29, 0xbf7e222b, v91
	v_fmac_f32_e32 v95, 0x3f62ad3f, v93
	s_delay_alu instid0(VALU_DEP_4) | instskip(SKIP_1) | instid1(VALU_DEP_3)
	v_dual_mul_f32 v91, 0x3f52af12, v91 :: v_dual_add_f32 v28, v90, v28
	v_fma_f32 v90, 0xbf788fa5, v93, -v94
	v_dual_fmac_f32 v94, 0xbf788fa5, v93 :: v_dual_add_f32 v23, v95, v23
	s_delay_alu instid0(VALU_DEP_2)
	v_dual_add_f32 v3, v3, v35 :: v_dual_add_f32 v24, v90, v24
	v_add_f32_e32 v90, v35, v37
	v_add_f32_e32 v92, v96, v92
	v_fma_f32 v96, 0x3df6dbef, v93, -v29
	v_fmac_f32_e32 v29, 0x3df6dbef, v93
	v_add_f32_e32 v67, v94, v67
	s_delay_alu instid0(VALU_DEP_3) | instskip(NEXT) | instid1(VALU_DEP_3)
	v_dual_add_f32 v3, v3, v32 :: v_dual_add_f32 v66, v96, v66
	v_dual_add_f32 v26, v29, v26 :: v_dual_sub_f32 v29, v34, v36
	v_fma_f32 v96, 0x3f116cb1, v93, -v91
	v_fmac_f32_e32 v91, 0x3f116cb1, v93
	s_delay_alu instid0(VALU_DEP_4) | instskip(NEXT) | instid1(VALU_DEP_4)
	v_add_f32_e32 v3, v3, v33
	v_mul_f32_e32 v95, 0xbf29c268, v29
	s_delay_alu instid0(VALU_DEP_3) | instskip(NEXT) | instid1(VALU_DEP_3)
	v_dual_mul_f32 v93, 0x3f7e222b, v29 :: v_dual_add_f32 v4, v91, v4
	v_dual_add_f32 v92, v96, v92 :: v_dual_add_f32 v3, v3, v37
	s_delay_alu instid0(VALU_DEP_3) | instskip(NEXT) | instid1(VALU_DEP_3)
	v_fma_f32 v94, 0xbf3f9e67, v90, -v95
	v_fma_f32 v91, 0x3df6dbef, v90, -v93
	v_fmac_f32_e32 v95, 0xbf3f9e67, v90
	v_fmac_f32_e32 v93, 0x3df6dbef, v90
	s_delay_alu instid0(VALU_DEP_4) | instskip(SKIP_4) | instid1(VALU_DEP_4)
	v_add_f32_e32 v21, v94, v21
	v_mul_f32_e32 v94, 0xbf52af12, v29
	v_add_f32_e32 v25, v91, v25
	v_mul_f32_e32 v91, 0x3e750f2a, v29
	v_dual_add_f32 v27, v95, v27 :: v_dual_add_f32 v22, v93, v22
	v_fma_f32 v95, 0x3f116cb1, v90, -v94
	v_mul_f32_e32 v93, 0x3eedf032, v29
	v_fmac_f32_e32 v94, 0x3f116cb1, v90
	v_fma_f32 v96, 0xbf788fa5, v90, -v91
	v_fmac_f32_e32 v91, 0xbf788fa5, v90
	v_mul_f32_e32 v29, 0xbf6f5d39, v29
	s_delay_alu instid0(VALU_DEP_4) | instskip(SKIP_1) | instid1(VALU_DEP_4)
	v_dual_add_f32 v23, v94, v23 :: v_dual_add_f32 v28, v95, v28
	v_fma_f32 v95, 0x3f62ad3f, v90, -v93
	v_dual_add_f32 v26, v91, v26 :: v_dual_sub_f32 v91, v30, v31
	v_add_f32_e32 v94, v96, v66
	v_fmac_f32_e32 v93, 0x3f62ad3f, v90
	v_fma_f32 v66, 0xbeb58ec6, v90, -v29
	v_dual_fmac_f32 v29, 0xbeb58ec6, v90 :: v_dual_add_f32 v90, v32, v33
	v_dual_add_f32 v24, v95, v24 :: v_dual_mul_f32 v95, 0xbe750f2a, v91
	s_delay_alu instid0(VALU_DEP_4) | instskip(NEXT) | instid1(VALU_DEP_3)
	v_add_f32_e32 v93, v93, v67
	v_dual_add_f32 v4, v29, v4 :: v_dual_mul_f32 v67, 0x3eedf032, v91
	v_add_f32_e32 v92, v66, v92
	s_delay_alu instid0(VALU_DEP_4) | instskip(SKIP_1) | instid1(VALU_DEP_1)
	v_fma_f32 v29, 0xbf788fa5, v90, -v95
	v_fmac_f32_e32 v95, 0xbf788fa5, v90
	v_dual_add_f32 v21, v29, v21 :: v_dual_add_f32 v66, v95, v27
	v_fma_f32 v27, 0x3f62ad3f, v90, -v67
	v_fmac_f32_e32 v67, 0x3f62ad3f, v90
	v_mul_f32_e32 v29, 0xbf29c268, v91
	s_delay_alu instid0(VALU_DEP_3) | instskip(NEXT) | instid1(VALU_DEP_3)
	v_add_f32_e32 v25, v27, v25
	v_add_f32_e32 v67, v67, v22
	s_delay_alu instid0(VALU_DEP_3) | instskip(SKIP_2) | instid1(VALU_DEP_2)
	v_fma_f32 v22, 0xbf3f9e67, v90, -v29
	v_fmac_f32_e32 v29, 0xbf3f9e67, v90
	v_mul_f32_e32 v27, 0x3f52af12, v91
	v_dual_add_f32 v23, v29, v23 :: v_dual_add_f32 v22, v22, v28
	v_mul_f32_e32 v29, 0xbf6f5d39, v91
	v_mul_f32_e32 v91, 0x3f7e222b, v91
	s_delay_alu instid0(VALU_DEP_4) | instskip(SKIP_1) | instid1(VALU_DEP_2)
	v_fma_f32 v28, 0x3f116cb1, v90, -v27
	v_fmac_f32_e32 v27, 0x3f116cb1, v90
	v_add_f32_e32 v95, v28, v94
	s_delay_alu instid0(VALU_DEP_2) | instskip(SKIP_3) | instid1(VALU_DEP_3)
	v_add_f32_e32 v26, v27, v26
	v_fma_f32 v27, 0xbeb58ec6, v90, -v29
	v_fmac_f32_e32 v29, 0xbeb58ec6, v90
	v_add_f32_e32 v3, v3, v47
	v_add_f32_e32 v24, v27, v24
	s_delay_alu instid0(VALU_DEP_2)
	v_dual_add_f32 v96, v29, v93 :: v_dual_add_f32 v3, v3, v59
	v_fma_f32 v27, 0x3df6dbef, v90, -v91
	v_fmac_f32_e32 v91, 0x3df6dbef, v90
	s_wait_alu 0xf1ff
	v_cndmask_b32_e64 v90, 0, 0x548, s1
	v_add3_u32 v93, 0, v11, v9
	v_add_f32_e32 v3, v3, v65
	v_add_f32_e32 v27, v27, v92
	;; [unrolled: 1-line block ×3, first 2 shown]
	ds_load_2addr_b32 v[28:29], v53 offset1:52
	v_dual_add_f32 v91, v3, v70 :: v_dual_add_nc_u32 v94, 0x400, v93
	v_add3_u32 v3, 0, v90, v12
	v_add_f32_e32 v15, v15, v81
	global_wb scope:SCOPE_SE
	s_wait_dscnt 0x0
	s_barrier_signal -1
	s_barrier_wait -1
	v_dual_add_f32 v15, v15, v88 :: v_dual_add_nc_u32 v92, 0x400, v3
	global_inv scope:SCOPE_SE
                                        ; implicit-def: $vgpr90
	v_add_f32_e32 v15, v15, v89
	ds_store_2addr_b32 v3, v15, v16 offset1:26
	ds_store_2addr_b32 v3, v17, v19 offset0:52 offset1:78
	ds_store_2addr_b32 v3, v18, v20 offset0:104 offset1:130
	;; [unrolled: 1-line block ×5, first 2 shown]
	ds_store_b32 v3, v5 offset:1248
	ds_store_2addr_b32 v93, v91, v21 offset1:26
	ds_store_2addr_b32 v93, v25, v22 offset0:52 offset1:78
	ds_store_2addr_b32 v93, v95, v24 offset0:104 offset1:130
	;; [unrolled: 1-line block ×5, first 2 shown]
	ds_store_b32 v93, v66 offset:1248
	v_add_nc_u32_e32 v95, 0xe00, v53
	global_wb scope:SCOPE_SE
	s_wait_dscnt 0x0
	s_barrier_signal -1
	s_barrier_wait -1
	global_inv scope:SCOPE_SE
	ds_load_2addr_b32 v[4:5], v53 offset1:52
	ds_load_2addr_b32 v[10:11], v38 offset0:82 offset1:134
	ds_load_2addr_b32 v[8:9], v46 offset0:164 offset1:216
	;; [unrolled: 1-line block ×11, first 2 shown]
                                        ; implicit-def: $vgpr91
	s_and_saveexec_b32 s1, s0
	s_cbranch_execz .LBB0_13
; %bb.12:
	ds_load_b32 v67, v53 offset:1248
	ds_load_b32 v66, v53 offset:2600
	;; [unrolled: 1-line block ×4, first 2 shown]
.LBB0_13:
	s_wait_alu 0xfffe
	s_or_b32 exec_lo, exec_lo, s1
	v_dual_add_f32 v96, v28, v86 :: v_dual_sub_f32 v87, v87, v89
	v_add_f32_e32 v89, v82, v84
	v_dual_add_f32 v86, v86, v83 :: v_dual_sub_f32 v85, v85, v88
	s_delay_alu instid0(VALU_DEP_3) | instskip(SKIP_2) | instid1(VALU_DEP_3)
	v_dual_add_f32 v82, v96, v82 :: v_dual_mul_f32 v97, 0xbf7e222b, v87
	v_mul_f32_e32 v98, 0xbf6f5d39, v87
	v_sub_f32_e32 v61, v61, v63
	v_dual_mul_f32 v101, 0xbf6f5d39, v85 :: v_dual_add_f32 v82, v82, v78
	v_mul_f32_e32 v99, 0xbf29c268, v87
	v_fmamk_f32 v106, v86, 0x3df6dbef, v97
	v_fma_f32 v97, 0x3df6dbef, v86, -v97
	v_mul_f32_e32 v96, 0xbf52af12, v87
	v_add_f32_e32 v82, v82, v74
	v_dual_fmamk_f32 v107, v86, 0xbeb58ec6, v98 :: v_dual_fmamk_f32 v110, v89, 0xbeb58ec6, v101
	v_mul_f32_e32 v100, 0xbf52af12, v85
	v_add_f32_e32 v97, v28, v97
	v_fmamk_f32 v105, v86, 0x3f116cb1, v96
	v_mul_f32_e32 v88, 0xbeedf032, v87
	v_dual_mul_f32 v87, 0xbe750f2a, v87 :: v_dual_mul_f32 v102, 0xbe750f2a, v85
	v_dual_add_f32 v107, v28, v107 :: v_dual_add_f32 v82, v82, v69
	v_fma_f32 v96, 0x3f116cb1, v86, -v96
	v_fma_f32 v98, 0xbeb58ec6, v86, -v98
	v_fmamk_f32 v108, v86, 0xbf3f9e67, v99
	v_fma_f32 v99, 0xbf3f9e67, v86, -v99
	v_dual_add_f32 v105, v28, v105 :: v_dual_fmamk_f32 v104, v86, 0x3f62ad3f, v88
	v_fma_f32 v88, 0x3f62ad3f, v86, -v88
	v_fmamk_f32 v109, v86, 0xbf788fa5, v87
	v_fma_f32 v86, 0xbf788fa5, v86, -v87
	v_fmamk_f32 v87, v89, 0x3f116cb1, v100
	v_dual_mul_f32 v103, 0x3f29c268, v85 :: v_dual_add_f32 v82, v82, v60
	v_fma_f32 v101, 0xbeb58ec6, v89, -v101
	v_dual_add_f32 v96, v28, v96 :: v_dual_sub_f32 v79, v79, v81
	v_fma_f32 v100, 0x3f116cb1, v89, -v100
	s_delay_alu instid0(VALU_DEP_4) | instskip(SKIP_3) | instid1(VALU_DEP_4)
	v_add_f32_e32 v82, v82, v62
	v_add_f32_e32 v88, v28, v88
	;; [unrolled: 1-line block ×4, first 2 shown]
	v_dual_fmamk_f32 v101, v89, 0xbf3f9e67, v103 :: v_dual_add_f32 v82, v82, v72
	s_delay_alu instid0(VALU_DEP_4)
	v_add_f32_e32 v88, v100, v88
	v_fma_f32 v100, 0xbf788fa5, v89, -v102
	v_add_f32_e32 v99, v28, v99
	v_add_f32_e32 v104, v28, v104
	;; [unrolled: 1-line block ×10, first 2 shown]
	v_mul_f32_e32 v80, 0xbf7e222b, v79
	v_add_f32_e32 v86, v28, v86
	v_add_f32_e32 v82, v82, v84
	;; [unrolled: 1-line block ×4, first 2 shown]
	v_sub_f32_e32 v58, v58, v70
	global_wb scope:SCOPE_SE
	s_wait_dscnt 0x0
	v_dual_add_f32 v28, v82, v83 :: v_dual_fmamk_f32 v83, v89, 0xbf788fa5, v102
	v_fma_f32 v102, 0xbf3f9e67, v89, -v103
	v_mul_f32_e32 v103, 0x3f7e222b, v85
	v_mul_f32_e32 v85, 0x3eedf032, v85
	v_add_f32_e32 v82, v110, v105
	s_barrier_signal -1
	s_barrier_wait -1
	v_fma_f32 v101, 0x3df6dbef, v89, -v103
	v_fmamk_f32 v81, v89, 0x3df6dbef, v103
	v_add_f32_e32 v83, v83, v106
	v_add_f32_e32 v98, v102, v98
	v_fmamk_f32 v102, v89, 0x3f62ad3f, v85
	v_fma_f32 v85, 0x3f62ad3f, v89, -v85
	v_add_f32_e32 v89, v101, v99
	v_fmamk_f32 v99, v78, 0x3df6dbef, v80
	v_mul_f32_e32 v101, 0xbe750f2a, v79
	v_add_f32_e32 v81, v81, v108
	v_add_f32_e32 v85, v85, v86
	global_inv scope:SCOPE_SE
	v_dual_add_f32 v86, v99, v87 :: v_dual_fmamk_f32 v87, v78, 0xbf788fa5, v101
	v_mul_f32_e32 v99, 0x3f6f5d39, v79
	v_dual_sub_f32 v75, v75, v77 :: v_dual_add_f32 v74, v74, v76
	v_sub_f32_e32 v71, v71, v73
	s_delay_alu instid0(VALU_DEP_3) | instskip(NEXT) | instid1(VALU_DEP_3)
	v_dual_add_f32 v82, v87, v82 :: v_dual_fmamk_f32 v87, v78, 0xbeb58ec6, v99
	v_mul_f32_e32 v73, 0x3f52af12, v75
	v_sub_f32_e32 v43, v43, v59
	s_delay_alu instid0(VALU_DEP_4) | instskip(NEXT) | instid1(VALU_DEP_4)
	v_dual_mul_f32 v63, 0xbf6f5d39, v71 :: v_dual_sub_f32 v50, v50, v65
	v_add_f32_e32 v83, v87, v83
	v_mul_f32_e32 v87, 0xbf52af12, v79
	v_fma_f32 v80, 0x3df6dbef, v78, -v80
	v_fma_f32 v101, 0xbf788fa5, v78, -v101
	;; [unrolled: 1-line block ×3, first 2 shown]
	v_sub_f32_e32 v35, v35, v37
	s_delay_alu instid0(VALU_DEP_4) | instskip(SKIP_3) | instid1(VALU_DEP_4)
	v_dual_fmamk_f32 v77, v78, 0x3f116cb1, v87 :: v_dual_add_f32 v80, v80, v88
	v_mul_f32_e32 v88, 0x3eedf032, v79
	v_dual_add_f32 v96, v101, v96 :: v_dual_mul_f32 v79, 0xbf29c268, v79
	v_fma_f32 v87, 0x3f116cb1, v78, -v87
	v_add_f32_e32 v77, v77, v81
	s_delay_alu instid0(VALU_DEP_4)
	v_fmamk_f32 v101, v78, 0x3f62ad3f, v88
	v_add_f32_e32 v84, v102, v84
	v_fma_f32 v88, 0x3f62ad3f, v78, -v88
	v_fmamk_f32 v81, v78, 0xbf3f9e67, v79
	v_mul_f32_e32 v76, 0xbf6f5d39, v75
	v_fma_f32 v78, 0xbf3f9e67, v78, -v79
	v_add_f32_e32 v79, v87, v89
	v_mul_f32_e32 v89, 0x3f29c268, v75
	v_dual_add_f32 v81, v81, v84 :: v_dual_add_f32 v88, v88, v98
	v_fmamk_f32 v87, v74, 0xbeb58ec6, v76
	v_fma_f32 v76, 0xbeb58ec6, v74, -v76
	v_add_f32_e32 v78, v78, v85
	v_fmamk_f32 v85, v74, 0xbf3f9e67, v89
	v_add_f32_e32 v97, v99, v97
	v_add_f32_e32 v84, v87, v86
	v_fma_f32 v86, 0xbf3f9e67, v74, -v89
	v_dual_mul_f32 v87, 0x3eedf032, v75 :: v_dual_add_f32 v76, v76, v80
	v_dual_mul_f32 v80, 0xbf7e222b, v75 :: v_dual_add_f32 v99, v101, v100
	s_delay_alu instid0(VALU_DEP_3) | instskip(SKIP_1) | instid1(VALU_DEP_3)
	v_dual_add_f32 v82, v85, v82 :: v_dual_add_f32 v85, v86, v96
	v_mul_f32_e32 v96, 0x3e750f2a, v75
	v_fmamk_f32 v89, v74, 0x3df6dbef, v80
	v_fmamk_f32 v86, v74, 0x3f62ad3f, v87
	v_fma_f32 v87, 0x3f62ad3f, v74, -v87
	v_fma_f32 v80, 0x3df6dbef, v74, -v80
	;; [unrolled: 1-line block ×3, first 2 shown]
	v_add_f32_e32 v69, v69, v72
	s_delay_alu instid0(VALU_DEP_4)
	v_dual_add_f32 v83, v86, v83 :: v_dual_add_f32 v86, v87, v97
	v_add_f32_e32 v87, v89, v99
	v_dual_fmamk_f32 v89, v74, 0xbf788fa5, v96 :: v_dual_add_f32 v80, v80, v88
	v_mul_f32_e32 v72, 0xbf29c268, v71
	v_fmamk_f32 v88, v74, 0x3f116cb1, v73
	v_fma_f32 v73, 0x3f116cb1, v74, -v73
	s_delay_alu instid0(VALU_DEP_4) | instskip(SKIP_1) | instid1(VALU_DEP_4)
	v_dual_add_f32 v77, v89, v77 :: v_dual_mul_f32 v74, 0x3f7e222b, v71
	v_sub_f32_e32 v32, v32, v33
	v_add_f32_e32 v81, v88, v81
	v_add_f32_e32 v75, v75, v79
	v_fmamk_f32 v79, v69, 0xbf3f9e67, v72
	v_fma_f32 v72, 0xbf3f9e67, v69, -v72
	v_add_f32_e32 v73, v73, v78
	v_fmamk_f32 v78, v69, 0x3df6dbef, v74
	v_fma_f32 v74, 0x3df6dbef, v69, -v74
	s_delay_alu instid0(VALU_DEP_4) | instskip(SKIP_1) | instid1(VALU_DEP_4)
	v_add_f32_e32 v72, v72, v76
	v_dual_mul_f32 v76, 0xbf52af12, v71 :: v_dual_add_f32 v79, v79, v84
	v_add_f32_e32 v78, v78, v82
	s_delay_alu instid0(VALU_DEP_4) | instskip(SKIP_1) | instid1(VALU_DEP_4)
	v_add_f32_e32 v74, v74, v85
	v_mul_f32_e32 v84, 0x3eedf032, v71
	v_fmamk_f32 v85, v69, 0x3f116cb1, v76
	v_fma_f32 v76, 0x3f116cb1, v69, -v76
	s_delay_alu instid0(VALU_DEP_1) | instskip(SKIP_2) | instid1(VALU_DEP_3)
	v_dual_fmamk_f32 v89, v69, 0x3f62ad3f, v84 :: v_dual_add_f32 v76, v76, v86
	v_mul_f32_e32 v82, 0x3e750f2a, v71
	v_fma_f32 v71, 0x3f62ad3f, v69, -v84
	v_add_f32_e32 v77, v89, v77
	s_delay_alu instid0(VALU_DEP_3) | instskip(SKIP_1) | instid1(VALU_DEP_1)
	v_fmamk_f32 v88, v69, 0xbf788fa5, v82
	v_fma_f32 v82, 0xbf788fa5, v69, -v82
	v_dual_add_f32 v83, v85, v83 :: v_dual_add_f32 v80, v82, v80
	v_add_f32_e32 v82, v29, v57
	v_fmamk_f32 v84, v69, 0xbeb58ec6, v63
	v_fma_f32 v63, 0xbeb58ec6, v69, -v63
	v_add_f32_e32 v69, v71, v75
	s_delay_alu instid0(VALU_DEP_4) | instskip(SKIP_1) | instid1(VALU_DEP_4)
	v_dual_add_f32 v85, v88, v87 :: v_dual_add_f32 v62, v82, v45
	v_mul_f32_e32 v82, 0xbe750f2a, v61
	v_add_f32_e32 v63, v63, v73
	v_add_f32_e32 v57, v57, v68
	s_delay_alu instid0(VALU_DEP_4) | instskip(NEXT) | instid1(VALU_DEP_4)
	v_dual_add_f32 v45, v45, v64 :: v_dual_add_f32 v62, v62, v42
	v_fmamk_f32 v71, v60, 0xbf788fa5, v82
	v_add_f32_e32 v75, v84, v81
	s_delay_alu instid0(VALU_DEP_3) | instskip(SKIP_1) | instid1(VALU_DEP_4)
	v_dual_mul_f32 v87, 0xbf6f5d39, v50 :: v_dual_add_f32 v62, v62, v39
	v_mul_f32_e32 v73, 0x3eedf032, v61
	v_add_f32_e32 v71, v71, v79
	v_fma_f32 v79, 0xbf788fa5, v60, -v82
	s_delay_alu instid0(VALU_DEP_4) | instskip(NEXT) | instid1(VALU_DEP_4)
	v_dual_mul_f32 v81, 0xbf29c268, v61 :: v_dual_add_f32 v62, v62, v34
	v_fmamk_f32 v82, v60, 0x3f62ad3f, v73
	v_fma_f32 v73, 0x3f62ad3f, v60, -v73
	s_delay_alu instid0(VALU_DEP_4) | instskip(SKIP_1) | instid1(VALU_DEP_3)
	v_add_f32_e32 v72, v79, v72
	v_dual_add_f32 v39, v39, v41 :: v_dual_add_f32 v34, v34, v36
	v_add_f32_e32 v73, v73, v74
	v_dual_fmamk_f32 v79, v60, 0xbf3f9e67, v81 :: v_dual_add_f32 v78, v82, v78
	v_mul_f32_e32 v74, 0x3f52af12, v61
	v_add_f32_e32 v62, v62, v30
	v_fma_f32 v81, 0xbf3f9e67, v60, -v81
	s_delay_alu instid0(VALU_DEP_4) | instskip(NEXT) | instid1(VALU_DEP_3)
	v_dual_add_f32 v79, v79, v83 :: v_dual_mul_f32 v82, 0xbf6f5d39, v61
	v_dual_fmamk_f32 v83, v60, 0x3f116cb1, v74 :: v_dual_add_f32 v62, v62, v31
	s_delay_alu instid0(VALU_DEP_3) | instskip(SKIP_1) | instid1(VALU_DEP_4)
	v_add_f32_e32 v76, v81, v76
	v_fma_f32 v74, 0x3f116cb1, v60, -v74
	v_fmamk_f32 v81, v60, 0xbeb58ec6, v82
	s_delay_alu instid0(VALU_DEP_4) | instskip(NEXT) | instid1(VALU_DEP_3)
	v_dual_add_f32 v83, v83, v85 :: v_dual_add_f32 v62, v62, v36
	v_dual_mul_f32 v61, 0x3f7e222b, v61 :: v_dual_add_f32 v74, v74, v80
	s_delay_alu instid0(VALU_DEP_3) | instskip(NEXT) | instid1(VALU_DEP_3)
	v_add_f32_e32 v77, v81, v77
	v_dual_mul_f32 v81, 0xbeedf032, v58 :: v_dual_add_f32 v62, v62, v41
	v_fma_f32 v70, 0xbeb58ec6, v60, -v82
	s_delay_alu instid0(VALU_DEP_4)
	v_fmamk_f32 v80, v60, 0x3df6dbef, v61
	v_fma_f32 v60, 0x3df6dbef, v60, -v61
	v_mul_f32_e32 v36, 0xbf29c268, v35
	v_add_f32_e32 v62, v62, v51
	v_dual_add_f32 v69, v70, v69 :: v_dual_fmamk_f32 v70, v57, 0x3f62ad3f, v81
	v_dual_add_f32 v30, v30, v31 :: v_dual_mul_f32 v31, 0xbe750f2a, v32
	s_delay_alu instid0(VALU_DEP_3) | instskip(SKIP_2) | instid1(VALU_DEP_3)
	v_dual_add_f32 v61, v62, v64 :: v_dual_mul_f32 v64, 0xbf52af12, v50
	v_add_f32_e32 v42, v42, v51
	v_mul_f32_e32 v51, 0xbf7e222b, v43
	v_dual_add_f32 v61, v61, v68 :: v_dual_add_f32 v62, v80, v75
	v_dual_add_f32 v60, v60, v63 :: v_dual_mul_f32 v85, 0xbf29c268, v58
	v_fma_f32 v63, 0x3f62ad3f, v57, -v81
	v_mul_f32_e32 v81, 0xbf6f5d39, v58
	v_mul_f32_e32 v75, 0xbf52af12, v58
	v_mul_f32_e32 v80, 0xbf7e222b, v58
	s_delay_alu instid0(VALU_DEP_4) | instskip(NEXT) | instid1(VALU_DEP_4)
	v_dual_mul_f32 v58, 0xbe750f2a, v58 :: v_dual_add_f32 v63, v29, v63
	v_fmamk_f32 v84, v57, 0xbeb58ec6, v81
	v_fma_f32 v81, 0xbeb58ec6, v57, -v81
	s_delay_alu instid0(VALU_DEP_3) | instskip(NEXT) | instid1(VALU_DEP_3)
	v_fmamk_f32 v86, v57, 0xbf788fa5, v58
	v_add_f32_e32 v84, v29, v84
	s_delay_alu instid0(VALU_DEP_3) | instskip(SKIP_4) | instid1(VALU_DEP_3)
	v_add_f32_e32 v81, v29, v81
	v_add_f32_e32 v68, v29, v70
	v_fmamk_f32 v70, v57, 0x3f116cb1, v75
	v_fma_f32 v75, 0x3f116cb1, v57, -v75
	v_add_f32_e32 v86, v29, v86
	v_add_f32_e32 v70, v29, v70
	s_delay_alu instid0(VALU_DEP_3) | instskip(SKIP_2) | instid1(VALU_DEP_2)
	v_add_f32_e32 v75, v29, v75
	v_fmamk_f32 v65, v57, 0xbf3f9e67, v85
	v_fma_f32 v85, 0xbf3f9e67, v57, -v85
	v_add_f32_e32 v65, v29, v65
	v_fmamk_f32 v82, v57, 0x3df6dbef, v80
	v_fma_f32 v80, 0x3df6dbef, v57, -v80
	v_fma_f32 v57, 0xbf788fa5, v57, -v58
	v_add_f32_e32 v58, v29, v85
	v_fmamk_f32 v85, v45, 0x3f116cb1, v64
	v_add_f32_e32 v82, v29, v82
	v_add_f32_e32 v80, v29, v80
	;; [unrolled: 1-line block ×3, first 2 shown]
	v_fma_f32 v57, 0x3f116cb1, v45, -v64
	v_add_f32_e32 v64, v85, v68
	v_fmamk_f32 v68, v45, 0xbeb58ec6, v87
	v_mul_f32_e32 v85, 0xbe750f2a, v50
	v_fma_f32 v87, 0xbeb58ec6, v45, -v87
	v_add_f32_e32 v57, v57, v63
	v_mul_f32_e32 v63, 0x3f29c268, v50
	v_add_f32_e32 v68, v68, v70
	s_delay_alu instid0(VALU_DEP_4) | instskip(SKIP_1) | instid1(VALU_DEP_4)
	v_dual_fmamk_f32 v70, v45, 0xbf788fa5, v85 :: v_dual_add_f32 v75, v87, v75
	v_fma_f32 v85, 0xbf788fa5, v45, -v85
	v_fmamk_f32 v87, v45, 0xbf3f9e67, v63
	v_fma_f32 v63, 0xbf3f9e67, v45, -v63
	s_delay_alu instid0(VALU_DEP_4) | instskip(SKIP_1) | instid1(VALU_DEP_3)
	v_add_f32_e32 v70, v70, v82
	v_mul_f32_e32 v82, 0x3f7e222b, v50
	v_dual_mul_f32 v50, 0x3eedf032, v50 :: v_dual_add_f32 v63, v63, v81
	s_delay_alu instid0(VALU_DEP_2) | instskip(SKIP_1) | instid1(VALU_DEP_2)
	v_fmamk_f32 v59, v45, 0x3df6dbef, v82
	v_fma_f32 v81, 0x3df6dbef, v45, -v82
	v_add_f32_e32 v59, v59, v65
	s_delay_alu instid0(VALU_DEP_4) | instskip(SKIP_1) | instid1(VALU_DEP_4)
	v_fmamk_f32 v65, v45, 0x3f62ad3f, v50
	v_fma_f32 v45, 0x3f62ad3f, v45, -v50
	v_add_f32_e32 v50, v81, v58
	v_fmamk_f32 v58, v42, 0x3df6dbef, v51
	v_mul_f32_e32 v81, 0xbe750f2a, v43
	s_delay_alu instid0(VALU_DEP_4) | instskip(SKIP_1) | instid1(VALU_DEP_4)
	v_add_f32_e32 v29, v45, v29
	v_fma_f32 v45, 0x3df6dbef, v42, -v51
	v_dual_add_f32 v51, v58, v64 :: v_dual_mul_f32 v64, 0x3f6f5d39, v43
	s_delay_alu instid0(VALU_DEP_4) | instskip(SKIP_1) | instid1(VALU_DEP_4)
	v_fmamk_f32 v58, v42, 0xbf788fa5, v81
	v_fma_f32 v81, 0xbf788fa5, v42, -v81
	v_add_f32_e32 v45, v45, v57
	v_mul_f32_e32 v57, 0x3eedf032, v43
	s_delay_alu instid0(VALU_DEP_4) | instskip(NEXT) | instid1(VALU_DEP_4)
	v_dual_add_f32 v65, v65, v86 :: v_dual_add_f32 v58, v58, v68
	v_dual_fmamk_f32 v68, v42, 0xbeb58ec6, v64 :: v_dual_add_f32 v75, v81, v75
	v_add_f32_e32 v84, v87, v84
	v_fma_f32 v64, 0xbeb58ec6, v42, -v64
	s_delay_alu instid0(VALU_DEP_3)
	v_dual_fmamk_f32 v81, v42, 0x3f62ad3f, v57 :: v_dual_add_f32 v68, v68, v70
	v_mul_f32_e32 v70, 0xbf52af12, v43
	v_add_f32_e32 v80, v85, v80
	v_sub_f32_e32 v40, v40, v47
	v_mul_f32_e32 v43, 0xbf29c268, v43
	v_fma_f32 v57, 0x3f62ad3f, v42, -v57
	s_delay_alu instid0(VALU_DEP_4) | instskip(SKIP_1) | instid1(VALU_DEP_3)
	v_dual_fmamk_f32 v47, v42, 0x3f116cb1, v70 :: v_dual_add_f32 v64, v64, v80
	v_add_f32_e32 v80, v81, v84
	v_add_f32_e32 v57, v57, v63
	s_delay_alu instid0(VALU_DEP_3) | instskip(SKIP_1) | instid1(VALU_DEP_1)
	v_add_f32_e32 v47, v47, v59
	v_fmamk_f32 v59, v42, 0xbf3f9e67, v43
	v_add_f32_e32 v59, v59, v65
	v_fma_f32 v63, 0x3f116cb1, v42, -v70
	v_fma_f32 v42, 0xbf3f9e67, v42, -v43
	s_delay_alu instid0(VALU_DEP_2) | instskip(NEXT) | instid1(VALU_DEP_2)
	v_add_f32_e32 v43, v63, v50
	v_add_f32_e32 v29, v42, v29
	v_mul_f32_e32 v41, 0xbf6f5d39, v40
	v_mul_f32_e32 v63, 0x3f29c268, v40
	s_delay_alu instid0(VALU_DEP_2) | instskip(NEXT) | instid1(VALU_DEP_1)
	v_fmamk_f32 v50, v39, 0xbeb58ec6, v41
	v_add_f32_e32 v42, v50, v51
	v_fma_f32 v41, 0xbeb58ec6, v39, -v41
	s_delay_alu instid0(VALU_DEP_1) | instskip(SKIP_2) | instid1(VALU_DEP_2)
	v_add_f32_e32 v41, v41, v45
	v_mul_f32_e32 v45, 0xbf7e222b, v40
	v_mul_f32_e32 v51, 0x3eedf032, v40
	v_fmamk_f32 v65, v39, 0x3df6dbef, v45
	v_fma_f32 v45, 0x3df6dbef, v39, -v45
	s_delay_alu instid0(VALU_DEP_1) | instskip(NEXT) | instid1(VALU_DEP_1)
	v_dual_fmamk_f32 v50, v39, 0xbf3f9e67, v63 :: v_dual_add_f32 v45, v45, v57
	v_add_f32_e32 v50, v50, v58
	v_fma_f32 v63, 0xbf3f9e67, v39, -v63
	v_fmamk_f32 v58, v39, 0x3f62ad3f, v51
	v_fma_f32 v51, 0x3f62ad3f, v39, -v51
	s_delay_alu instid0(VALU_DEP_2) | instskip(SKIP_1) | instid1(VALU_DEP_3)
	v_dual_add_f32 v63, v63, v75 :: v_dual_add_f32 v58, v58, v68
	v_mul_f32_e32 v68, 0x3e750f2a, v40
	v_add_f32_e32 v51, v51, v64
	s_delay_alu instid0(VALU_DEP_2) | instskip(SKIP_1) | instid1(VALU_DEP_2)
	v_dual_add_f32 v64, v65, v80 :: v_dual_fmamk_f32 v37, v39, 0xbf788fa5, v68
	v_fma_f32 v57, 0xbf788fa5, v39, -v68
	v_dual_mul_f32 v40, 0x3f52af12, v40 :: v_dual_add_f32 v37, v37, v47
	s_delay_alu instid0(VALU_DEP_2) | instskip(NEXT) | instid1(VALU_DEP_2)
	v_add_f32_e32 v43, v57, v43
	v_fmamk_f32 v47, v39, 0x3f116cb1, v40
	v_fma_f32 v39, 0x3f116cb1, v39, -v40
	v_fmamk_f32 v40, v34, 0xbf3f9e67, v36
	v_mul_f32_e32 v57, 0x3f7e222b, v35
	v_fma_f32 v36, 0xbf3f9e67, v34, -v36
	s_delay_alu instid0(VALU_DEP_4) | instskip(NEXT) | instid1(VALU_DEP_4)
	v_add_f32_e32 v29, v39, v29
	v_dual_add_f32 v39, v40, v42 :: v_dual_mul_f32 v42, 0xbf52af12, v35
	s_delay_alu instid0(VALU_DEP_4) | instskip(NEXT) | instid1(VALU_DEP_4)
	v_fmamk_f32 v40, v34, 0x3df6dbef, v57
	v_add_f32_e32 v36, v36, v41
	v_fma_f32 v41, 0x3df6dbef, v34, -v57
	s_delay_alu instid0(VALU_DEP_3) | instskip(NEXT) | instid1(VALU_DEP_2)
	v_dual_mul_f32 v57, 0x3e750f2a, v35 :: v_dual_add_f32 v40, v40, v50
	v_dual_fmamk_f32 v50, v34, 0x3f116cb1, v42 :: v_dual_add_f32 v41, v41, v63
	v_fma_f32 v42, 0x3f116cb1, v34, -v42
	s_delay_alu instid0(VALU_DEP_2) | instskip(NEXT) | instid1(VALU_DEP_4)
	v_dual_add_f32 v50, v50, v58 :: v_dual_add_f32 v47, v47, v59
	v_fmamk_f32 v59, v34, 0xbf788fa5, v57
	v_fma_f32 v57, 0xbf788fa5, v34, -v57
	s_delay_alu instid0(VALU_DEP_4) | instskip(SKIP_1) | instid1(VALU_DEP_3)
	v_add_f32_e32 v42, v42, v51
	v_mul_f32_e32 v51, 0x3eedf032, v35
	v_add_f32_e32 v45, v57, v45
	v_mul_f32_e32 v33, 0xbf6f5d39, v35
	s_delay_alu instid0(VALU_DEP_3) | instskip(SKIP_1) | instid1(VALU_DEP_3)
	v_fmamk_f32 v35, v34, 0x3f62ad3f, v51
	v_fma_f32 v51, 0x3f62ad3f, v34, -v51
	v_fmamk_f32 v57, v34, 0xbeb58ec6, v33
	s_delay_alu instid0(VALU_DEP_3) | instskip(NEXT) | instid1(VALU_DEP_3)
	v_add_f32_e32 v35, v35, v37
	v_add_f32_e32 v37, v51, v43
	v_fma_f32 v33, 0xbeb58ec6, v34, -v33
	s_delay_alu instid0(VALU_DEP_4) | instskip(SKIP_2) | instid1(VALU_DEP_4)
	v_dual_fmamk_f32 v34, v30, 0xbf788fa5, v31 :: v_dual_add_f32 v43, v57, v47
	v_mul_f32_e32 v47, 0x3eedf032, v32
	v_fma_f32 v31, 0xbf788fa5, v30, -v31
	v_add_f32_e32 v29, v33, v29
	s_delay_alu instid0(VALU_DEP_4) | instskip(NEXT) | instid1(VALU_DEP_3)
	v_dual_add_f32 v33, v34, v39 :: v_dual_mul_f32 v34, 0xbf29c268, v32
	v_dual_fmamk_f32 v39, v30, 0x3f62ad3f, v47 :: v_dual_add_f32 v58, v31, v36
	v_fma_f32 v31, 0x3f62ad3f, v30, -v47
	v_mul_f32_e32 v36, 0x3f52af12, v32
	s_delay_alu instid0(VALU_DEP_4) | instskip(SKIP_1) | instid1(VALU_DEP_4)
	v_fmamk_f32 v47, v30, 0xbf3f9e67, v34
	v_fma_f32 v34, 0xbf3f9e67, v30, -v34
	v_add_f32_e32 v57, v31, v41
	v_mul_f32_e32 v41, 0xbf6f5d39, v32
	v_mul_f32_e32 v32, 0x3f7e222b, v32
	v_add_f32_e32 v39, v39, v40
	v_dual_fmamk_f32 v31, v30, 0x3f116cb1, v36 :: v_dual_add_f32 v40, v47, v50
	v_dual_add_f32 v59, v59, v64 :: v_dual_add_f32 v34, v34, v42
	v_fmamk_f32 v42, v30, 0xbeb58ec6, v41
	v_fma_f32 v36, 0x3f116cb1, v30, -v36
	v_fma_f32 v41, 0xbeb58ec6, v30, -v41
	v_fmamk_f32 v47, v30, 0x3df6dbef, v32
	v_fma_f32 v30, 0x3df6dbef, v30, -v32
	s_delay_alu instid0(VALU_DEP_4) | instskip(NEXT) | instid1(VALU_DEP_4)
	v_dual_add_f32 v31, v31, v59 :: v_dual_add_f32 v32, v36, v45
	v_dual_add_f32 v35, v42, v35 :: v_dual_add_f32 v36, v41, v37
	s_delay_alu instid0(VALU_DEP_4) | instskip(NEXT) | instid1(VALU_DEP_4)
	v_add_f32_e32 v37, v47, v43
	v_add_f32_e32 v29, v30, v29
	ds_store_2addr_b32 v3, v28, v71 offset1:26
	ds_store_2addr_b32 v3, v78, v79 offset0:52 offset1:78
	ds_store_2addr_b32 v3, v83, v77 offset0:104 offset1:130
	;; [unrolled: 1-line block ×5, first 2 shown]
	ds_store_b32 v3, v72 offset:1248
	ds_store_2addr_b32 v93, v61, v33 offset1:26
	ds_store_2addr_b32 v93, v39, v40 offset0:52 offset1:78
	ds_store_2addr_b32 v93, v31, v35 offset0:104 offset1:130
	;; [unrolled: 1-line block ×5, first 2 shown]
	ds_store_b32 v93, v58 offset:1248
	global_wb scope:SCOPE_SE
	s_wait_dscnt 0x0
	s_barrier_signal -1
	s_barrier_wait -1
	global_inv scope:SCOPE_SE
	ds_load_2addr_b32 v[28:29], v53 offset1:52
	ds_load_2addr_b32 v[32:33], v38 offset0:82 offset1:134
	ds_load_2addr_b32 v[36:37], v46 offset0:164 offset1:216
	;; [unrolled: 1-line block ×11, first 2 shown]
                                        ; implicit-def: $vgpr60
                                        ; implicit-def: $vgpr59
	s_and_saveexec_b32 s1, s0
	s_cbranch_execz .LBB0_15
; %bb.14:
	ds_load_b32 v57, v53 offset:1248
	ds_load_b32 v58, v53 offset:2600
	;; [unrolled: 1-line block ×4, first 2 shown]
	v_mov_b32_e32 v56, v52
.LBB0_15:
	s_wait_alu 0xfffe
	s_or_b32 exec_lo, exec_lo, s1
	s_and_saveexec_b32 s1, vcc_lo
	s_cbranch_execz .LBB0_18
; %bb.16:
	v_mul_u32_u24_e32 v3, 3, v54
	v_mul_u32_u24_e32 v52, 3, v2
	s_delay_alu instid0(VALU_DEP_2)
	v_lshlrev_b32_e32 v3, 3, v3
	s_clause 0x1
	global_load_b128 v[61:64], v3, s[4:5] offset:2688
	global_load_b64 v[88:89], v3, s[4:5] offset:2704
	v_lshlrev_b32_e32 v65, 3, v52
	v_mad_u32_u24 v52, v54, 3, 0xffffff64
	v_mov_b32_e32 v53, 0
	s_clause 0x1
	global_load_b128 v[68:71], v65, s[4:5] offset:2688
	global_load_b64 v[92:93], v65, s[4:5] offset:2704
	v_lshlrev_b64_e32 v[72:73], 3, v[52:53]
	v_mad_u32_u24 v52, v54, 3, 0xfffffec8
	s_delay_alu instid0(VALU_DEP_2) | instskip(SKIP_1) | instid1(VALU_DEP_3)
	v_add_co_u32 v76, vcc_lo, s4, v72
	s_wait_alu 0xfffd
	v_add_co_ci_u32_e32 v77, vcc_lo, s5, v73, vcc_lo
	s_clause 0x1
	global_load_b128 v[72:75], v[76:77], off offset:2688
	global_load_b64 v[94:95], v[76:77], off offset:2704
	v_lshlrev_b64_e32 v[76:77], 3, v[52:53]
	v_mad_u32_u24 v52, v54, 3, 0xfffffe2c
	s_delay_alu instid0(VALU_DEP_2) | instskip(SKIP_1) | instid1(VALU_DEP_3)
	v_add_co_u32 v80, vcc_lo, s4, v76
	s_wait_alu 0xfffd
	v_add_co_ci_u32_e32 v81, vcc_lo, s5, v77, vcc_lo
	s_clause 0x1
	global_load_b128 v[76:79], v[80:81], off offset:2688
	global_load_b64 v[96:97], v[80:81], off offset:2704
	v_lshlrev_b64_e32 v[80:81], 3, v[52:53]
	v_mad_u32_u24 v52, v54, 3, 0xfffffd90
	v_mul_hi_u32 v54, 0x60f25deb, v54
	s_delay_alu instid0(VALU_DEP_3) | instskip(SKIP_1) | instid1(VALU_DEP_4)
	v_add_co_u32 v84, vcc_lo, s4, v80
	s_wait_alu 0xfffd
	v_add_co_ci_u32_e32 v85, vcc_lo, s5, v81, vcc_lo
	s_clause 0x1
	global_load_b128 v[80:83], v[84:85], off offset:2688
	global_load_b64 v[98:99], v[84:85], off offset:2704
	v_lshlrev_b64_e32 v[84:85], 3, v[52:53]
	v_mul_hi_u32 v52, 0x60f25deb, v55
	v_lshrrev_b32_e32 v65, 7, v54
	s_delay_alu instid0(VALU_DEP_3) | instskip(SKIP_1) | instid1(VALU_DEP_4)
	v_add_co_u32 v100, vcc_lo, s4, v84
	s_wait_alu 0xfffd
	v_add_co_ci_u32_e32 v101, vcc_lo, s5, v85, vcc_lo
	s_clause 0x1
	global_load_b128 v[84:87], v[100:101], off offset:2688
	global_load_b64 v[100:101], v[100:101], off offset:2704
	v_lshrrev_b32_e32 v52, 7, v52
	v_add_co_u32 v0, vcc_lo, s8, v0
	s_wait_alu 0xfffd
	v_add_co_ci_u32_e32 v1, vcc_lo, s9, v1, vcc_lo
	s_delay_alu instid0(VALU_DEP_3) | instskip(NEXT) | instid1(VALU_DEP_1)
	v_mul_u32_u24_e32 v52, 0x3f6, v52
	v_lshlrev_b64_e32 v[54:55], 3, v[52:53]
	v_mul_u32_u24_e32 v52, 0x3f6, v65
	s_wait_loadcnt_dscnt 0xb02
	v_mul_f32_e32 v65, v47, v62
	v_mul_f32_e32 v62, v25, v62
	v_mov_b32_e32 v3, v53
	s_wait_loadcnt_dscnt 0xa00
	v_mul_f32_e32 v102, v49, v89
	v_mul_f32_e32 v89, v27, v89
	s_wait_loadcnt 0x9
	v_mul_f32_e32 v104, v32, v69
	v_lshlrev_b64_e32 v[2:3], 3, v[2:3]
	v_fma_f32 v27, v27, v88, -v102
	v_fmac_f32_e32 v62, v47, v61
	s_delay_alu instid0(VALU_DEP_3) | instskip(SKIP_1) | instid1(VALU_DEP_4)
	v_add_co_u32 v0, vcc_lo, v0, v2
	s_wait_alu 0xfffd
	v_add_co_ci_u32_e32 v1, vcc_lo, v1, v3, vcc_lo
	v_lshlrev_b64_e32 v[2:3], 3, v[52:53]
	v_mul_f32_e32 v52, v51, v63
	v_mul_f32_e32 v103, v8, v71
	;; [unrolled: 1-line block ×4, first 2 shown]
	v_add_co_u32 v54, vcc_lo, v0, v54
	s_wait_loadcnt 0x8
	v_dual_fmac_f32 v52, v23, v64 :: v_dual_mul_f32 v105, v34, v93
	v_fma_f32 v8, v8, v70, -v71
	v_mul_f32_e32 v69, v10, v69
	v_fmac_f32_e32 v103, v36, v70
	v_fma_f32 v10, v10, v68, -v104
	v_mul_f32_e32 v93, v12, v93
	s_wait_loadcnt 0x6
	v_mul_f32_e32 v36, v48, v95
	v_sub_f32_e32 v8, v4, v8
	v_dual_fmac_f32 v69, v32, v68 :: v_dual_mul_f32 v32, v50, v74
	v_fma_f32 v23, v23, v63, -v51
	v_fmac_f32_e32 v89, v49, v88
	v_dual_mul_f32 v47, v50, v75 :: v_dual_sub_f32 v50, v45, v52
	v_fma_f32 v12, v12, v92, -v105
	s_wait_loadcnt 0x5
	v_dual_mul_f32 v49, v26, v95 :: v_dual_mul_f32 v68, v17, v77
	v_sub_f32_e32 v51, v21, v23
	v_fmac_f32_e32 v32, v22, v75
	v_sub_f32_e32 v52, v62, v89
	v_sub_f32_e32 v12, v10, v12
	v_fmac_f32_e32 v93, v34, v92
	v_mul_f32_e32 v34, v46, v73
	v_fma_f32 v25, v25, v61, -v65
	v_mul_f32_e32 v61, v24, v73
	v_fma_f32 v26, v26, v94, -v36
	v_dual_fmac_f32 v49, v48, v94 :: v_dual_fmac_f32 v68, v39, v76
	s_wait_loadcnt 0x4
	v_dual_sub_f32 v27, v25, v27 :: v_dual_mul_f32 v70, v19, v97
	v_fma_f32 v34, v24, v72, -v34
	v_sub_f32_e32 v63, v28, v103
	s_wait_loadcnt 0x3
	v_dual_fmac_f32 v61, v46, v72 :: v_dual_mul_f32 v72, v16, v81
	v_mul_f32_e32 v65, v15, v79
	v_mul_f32_e32 v46, v39, v77
	;; [unrolled: 1-line block ×3, first 2 shown]
	v_sub_f32_e32 v64, v69, v93
	v_fma_f32 v36, v22, v74, -v47
	v_mul_f32_e32 v47, v41, v97
	v_add_f32_e32 v23, v50, v27
	v_fma_f32 v71, v45, 2.0, -v50
	v_fma_f32 v45, v62, 2.0, -v52
	v_sub_f32_e32 v24, v8, v64
	v_sub_f32_e32 v22, v51, v52
	v_fma_f32 v21, v21, 2.0, -v51
	v_fma_f32 v52, v25, 2.0, -v27
	;; [unrolled: 1-line block ×3, first 2 shown]
	v_dual_sub_f32 v64, v61, v49 :: v_dual_add_f32 v25, v63, v12
	v_fma_f32 v4, v4, 2.0, -v8
	v_fma_f32 v10, v10, 2.0, -v12
	v_sub_f32_e32 v12, v44, v32
	v_sub_f32_e32 v32, v34, v26
	v_fma_f32 v28, v28, 2.0, -v63
	v_dual_sub_f32 v36, v20, v36 :: v_dual_fmac_f32 v65, v43, v78
	v_fmac_f32_e32 v70, v41, v96
	v_fma_f32 v43, v17, v76, -v46
	v_fma_f32 v17, v19, v96, -v47
	;; [unrolled: 1-line block ×3, first 2 shown]
	v_dual_mul_f32 v41, v14, v83 :: v_dual_sub_f32 v46, v71, v45
	v_mul_f32_e32 v19, v38, v81
	s_wait_loadcnt 0x2
	v_mul_f32_e32 v39, v40, v99
	v_mul_f32_e32 v69, v42, v83
	;; [unrolled: 1-line block ×3, first 2 shown]
	v_fma_f32 v27, v50, 2.0, -v23
	s_wait_loadcnt 0x1
	v_dual_sub_f32 v45, v21, v52 :: v_dual_mul_f32 v74, v11, v85
	v_fma_f32 v47, v8, 2.0, -v24
	v_sub_f32_e32 v50, v28, v62
	v_dual_sub_f32 v49, v4, v10 :: v_dual_fmac_f32 v72, v38, v80
	v_add_f32_e32 v52, v12, v32
	v_fma_f32 v8, v44, 2.0, -v12
	v_fma_f32 v44, v20, 2.0, -v36
	;; [unrolled: 1-line block ×3, first 2 shown]
	v_sub_f32_e32 v32, v31, v65
	v_sub_f32_e32 v62, v68, v70
	v_fma_f32 v26, v51, 2.0, -v22
	v_fma_f32 v48, v63, 2.0, -v25
	v_sub_f32_e32 v51, v36, v64
	v_fma_f32 v10, v61, 2.0, -v64
	v_sub_f32_e32 v34, v43, v17
	v_dual_sub_f32 v61, v7, v15 :: v_dual_sub_f32 v20, v44, v20
	v_dual_fmac_f32 v41, v42, v82 :: v_dual_mul_f32 v70, v37, v87
	v_fma_f32 v42, v16, v80, -v19
	v_fma_f32 v63, v18, v98, -v39
	;; [unrolled: 1-line block ×3, first 2 shown]
	v_dual_fmac_f32 v73, v40, v98 :: v_dual_mul_f32 v40, v9, v87
	v_fma_f32 v16, v4, 2.0, -v49
	v_fma_f32 v19, v12, 2.0, -v52
	;; [unrolled: 1-line block ×4, first 2 shown]
	s_wait_loadcnt 0x0
	v_mul_f32_e32 v75, v13, v101
	v_mul_f32_e32 v65, v33, v85
	v_dual_mul_f32 v69, v35, v101 :: v_dual_sub_f32 v38, v61, v62
	v_fma_f32 v14, v21, 2.0, -v45
	v_fma_f32 v18, v36, 2.0, -v51
	v_dual_sub_f32 v21, v8, v10 :: v_dual_fmac_f32 v74, v33, v84
	v_fma_f32 v31, v43, 2.0, -v34
	v_sub_f32_e32 v36, v30, v41
	v_dual_sub_f32 v41, v6, v64 :: v_dual_fmac_f32 v40, v37, v86
	v_dual_add_f32 v39, v32, v34 :: v_dual_sub_f32 v34, v42, v63
	v_fma_f32 v62, v9, v86, -v70
	v_sub_f32_e32 v12, v4, v12
	v_fmac_f32_e32 v75, v35, v100
	v_fma_f32 v17, v28, 2.0, -v50
	v_fma_f32 v28, v7, 2.0, -v61
	v_fma_f32 v37, v11, v84, -v65
	v_fma_f32 v13, v13, v100, -v69
	v_fma_f32 v7, v44, 2.0, -v20
	v_fma_f32 v9, v61, 2.0, -v38
	;; [unrolled: 1-line block ×4, first 2 shown]
	v_sub_f32_e32 v44, v29, v40
	v_fma_f32 v10, v32, 2.0, -v39
	v_add_f32_e32 v32, v36, v34
	v_sub_f32_e32 v43, v72, v73
	v_dual_sub_f32 v61, v5, v62 :: v_dual_sub_f32 v62, v74, v75
	v_dual_sub_f32 v11, v28, v31 :: v_dual_sub_f32 v40, v6, v42
	v_fma_f32 v30, v30, 2.0, -v36
	v_sub_f32_e32 v13, v37, v13
	v_fma_f32 v63, v29, 2.0, -v44
	v_fma_f32 v64, v5, 2.0, -v61
	v_sub_f32_e32 v42, v61, v62
	v_fma_f32 v62, v74, 2.0, -v62
	v_sub_f32_e32 v31, v41, v43
	v_fma_f32 v43, v72, 2.0, -v43
	v_fma_f32 v33, v28, 2.0, -v11
	v_fma_f32 v28, v61, 2.0, -v42
	v_sub_f32_e32 v62, v63, v62
	v_fma_f32 v35, v41, 2.0, -v31
	v_sub_f32_e32 v41, v30, v43
	v_add_f32_e32 v43, v44, v13
	v_fma_f32 v13, v37, 2.0, -v13
	s_wait_alu 0xfffd
	v_add_co_ci_u32_e32 v55, vcc_lo, v1, v55, vcc_lo
	v_fma_f32 v36, v36, 2.0, -v32
	v_fma_f32 v29, v44, 2.0, -v43
	v_sub_f32_e32 v61, v64, v13
	v_add_co_u32 v2, vcc_lo, v0, v2
	s_wait_alu 0xfffd
	v_add_co_ci_u32_e32 v3, vcc_lo, v1, v3, vcc_lo
	v_fma_f32 v15, v71, 2.0, -v46
	v_fma_f32 v8, v8, 2.0, -v21
	;; [unrolled: 1-line block ×5, first 2 shown]
	s_clause 0x3
	global_store_b64 v[0:1], v[24:25], off offset:8112
	global_store_b64 v[0:1], v[42:43], off offset:8528
	;; [unrolled: 1-line block ×4, first 2 shown]
	v_fma_f32 v25, v63, 2.0, -v62
	v_fma_f32 v24, v64, 2.0, -v61
	s_clause 0x13
	global_store_b64 v[0:1], v[47:48], off offset:2704
	global_store_b64 v[0:1], v[28:29], off offset:3120
	;; [unrolled: 1-line block ×12, first 2 shown]
	global_store_b64 v[0:1], v[16:17], off
	global_store_b64 v[0:1], v[24:25], off offset:416
	global_store_b64 v[0:1], v[4:5], off offset:832
	;; [unrolled: 1-line block ×7, first 2 shown]
	s_and_b32 exec_lo, exec_lo, s0
	s_cbranch_execz .LBB0_18
; %bb.17:
	v_mul_i32_i24_e32 v52, 3, v56
	s_delay_alu instid0(VALU_DEP_1) | instskip(NEXT) | instid1(VALU_DEP_1)
	v_lshlrev_b64_e32 v[2:3], 3, v[52:53]
	v_add_co_u32 v6, vcc_lo, s4, v2
	s_wait_alu 0xfffd
	s_delay_alu instid0(VALU_DEP_2)
	v_add_co_ci_u32_e32 v7, vcc_lo, s5, v3, vcc_lo
	s_clause 0x1
	global_load_b128 v[2:5], v[6:7], off offset:2688
	global_load_b64 v[6:7], v[6:7], off offset:2704
	s_wait_loadcnt 0x1
	v_dual_mul_f32 v8, v58, v3 :: v_dual_mul_f32 v9, v60, v5
	v_mul_f32_e32 v3, v66, v3
	s_wait_loadcnt 0x0
	v_dual_mul_f32 v5, v90, v5 :: v_dual_mul_f32 v10, v59, v7
	s_delay_alu instid0(VALU_DEP_3) | instskip(NEXT) | instid1(VALU_DEP_3)
	v_fma_f32 v8, v66, v2, -v8
	v_fmac_f32_e32 v3, v58, v2
	s_delay_alu instid0(VALU_DEP_3) | instskip(SKIP_3) | instid1(VALU_DEP_3)
	v_fmac_f32_e32 v5, v60, v4
	v_mul_f32_e32 v7, v91, v7
	v_fma_f32 v2, v90, v4, -v9
	v_fma_f32 v4, v91, v6, -v10
	v_dual_sub_f32 v10, v57, v5 :: v_dual_fmac_f32 v7, v59, v6
	s_delay_alu instid0(VALU_DEP_3) | instskip(NEXT) | instid1(VALU_DEP_2)
	v_sub_f32_e32 v6, v67, v2
	v_fma_f32 v11, v57, 2.0, -v10
	s_delay_alu instid0(VALU_DEP_3) | instskip(NEXT) | instid1(VALU_DEP_3)
	v_dual_sub_f32 v2, v3, v7 :: v_dual_sub_f32 v9, v8, v4
	v_fma_f32 v7, v67, 2.0, -v6
	s_delay_alu instid0(VALU_DEP_2) | instskip(NEXT) | instid1(VALU_DEP_1)
	v_fma_f32 v4, v8, 2.0, -v9
	v_sub_f32_e32 v4, v7, v4
	s_delay_alu instid0(VALU_DEP_4) | instskip(SKIP_1) | instid1(VALU_DEP_3)
	v_fma_f32 v3, v3, 2.0, -v2
	v_sub_f32_e32 v2, v6, v2
	v_fma_f32 v8, v7, 2.0, -v4
	s_delay_alu instid0(VALU_DEP_3) | instskip(SKIP_1) | instid1(VALU_DEP_4)
	v_sub_f32_e32 v5, v11, v3
	v_add_f32_e32 v3, v10, v9
	v_fma_f32 v6, v6, 2.0, -v2
	s_delay_alu instid0(VALU_DEP_3) | instskip(NEXT) | instid1(VALU_DEP_3)
	v_fma_f32 v9, v11, 2.0, -v5
	v_fma_f32 v7, v10, 2.0, -v3
	s_clause 0x3
	global_store_b64 v[0:1], v[8:9], off offset:2496
	global_store_b64 v[0:1], v[6:7], off offset:5200
	;; [unrolled: 1-line block ×4, first 2 shown]
.LBB0_18:
	s_nop 0
	s_sendmsg sendmsg(MSG_DEALLOC_VGPRS)
	s_endpgm
	.section	.rodata,"a",@progbits
	.p2align	6, 0x0
	.amdhsa_kernel fft_rtc_fwd_len1352_factors_2_13_13_4_wgs_52_tpt_52_halfLds_sp_ip_CI_unitstride_sbrr_dirReg
		.amdhsa_group_segment_fixed_size 0
		.amdhsa_private_segment_fixed_size 0
		.amdhsa_kernarg_size 88
		.amdhsa_user_sgpr_count 2
		.amdhsa_user_sgpr_dispatch_ptr 0
		.amdhsa_user_sgpr_queue_ptr 0
		.amdhsa_user_sgpr_kernarg_segment_ptr 1
		.amdhsa_user_sgpr_dispatch_id 0
		.amdhsa_user_sgpr_private_segment_size 0
		.amdhsa_wavefront_size32 1
		.amdhsa_uses_dynamic_stack 0
		.amdhsa_enable_private_segment 0
		.amdhsa_system_sgpr_workgroup_id_x 1
		.amdhsa_system_sgpr_workgroup_id_y 0
		.amdhsa_system_sgpr_workgroup_id_z 0
		.amdhsa_system_sgpr_workgroup_info 0
		.amdhsa_system_vgpr_workitem_id 0
		.amdhsa_next_free_vgpr 129
		.amdhsa_next_free_sgpr 32
		.amdhsa_reserve_vcc 1
		.amdhsa_float_round_mode_32 0
		.amdhsa_float_round_mode_16_64 0
		.amdhsa_float_denorm_mode_32 3
		.amdhsa_float_denorm_mode_16_64 3
		.amdhsa_fp16_overflow 0
		.amdhsa_workgroup_processor_mode 1
		.amdhsa_memory_ordered 1
		.amdhsa_forward_progress 0
		.amdhsa_round_robin_scheduling 0
		.amdhsa_exception_fp_ieee_invalid_op 0
		.amdhsa_exception_fp_denorm_src 0
		.amdhsa_exception_fp_ieee_div_zero 0
		.amdhsa_exception_fp_ieee_overflow 0
		.amdhsa_exception_fp_ieee_underflow 0
		.amdhsa_exception_fp_ieee_inexact 0
		.amdhsa_exception_int_div_zero 0
	.end_amdhsa_kernel
	.text
.Lfunc_end0:
	.size	fft_rtc_fwd_len1352_factors_2_13_13_4_wgs_52_tpt_52_halfLds_sp_ip_CI_unitstride_sbrr_dirReg, .Lfunc_end0-fft_rtc_fwd_len1352_factors_2_13_13_4_wgs_52_tpt_52_halfLds_sp_ip_CI_unitstride_sbrr_dirReg
                                        ; -- End function
	.section	.AMDGPU.csdata,"",@progbits
; Kernel info:
; codeLenInByte = 19536
; NumSgprs: 34
; NumVgprs: 129
; ScratchSize: 0
; MemoryBound: 0
; FloatMode: 240
; IeeeMode: 1
; LDSByteSize: 0 bytes/workgroup (compile time only)
; SGPRBlocks: 4
; VGPRBlocks: 16
; NumSGPRsForWavesPerEU: 34
; NumVGPRsForWavesPerEU: 129
; Occupancy: 10
; WaveLimiterHint : 1
; COMPUTE_PGM_RSRC2:SCRATCH_EN: 0
; COMPUTE_PGM_RSRC2:USER_SGPR: 2
; COMPUTE_PGM_RSRC2:TRAP_HANDLER: 0
; COMPUTE_PGM_RSRC2:TGID_X_EN: 1
; COMPUTE_PGM_RSRC2:TGID_Y_EN: 0
; COMPUTE_PGM_RSRC2:TGID_Z_EN: 0
; COMPUTE_PGM_RSRC2:TIDIG_COMP_CNT: 0
	.text
	.p2alignl 7, 3214868480
	.fill 96, 4, 3214868480
	.type	__hip_cuid_12dae026beafc91c,@object ; @__hip_cuid_12dae026beafc91c
	.section	.bss,"aw",@nobits
	.globl	__hip_cuid_12dae026beafc91c
__hip_cuid_12dae026beafc91c:
	.byte	0                               ; 0x0
	.size	__hip_cuid_12dae026beafc91c, 1

	.ident	"AMD clang version 19.0.0git (https://github.com/RadeonOpenCompute/llvm-project roc-6.4.0 25133 c7fe45cf4b819c5991fe208aaa96edf142730f1d)"
	.section	".note.GNU-stack","",@progbits
	.addrsig
	.addrsig_sym __hip_cuid_12dae026beafc91c
	.amdgpu_metadata
---
amdhsa.kernels:
  - .args:
      - .actual_access:  read_only
        .address_space:  global
        .offset:         0
        .size:           8
        .value_kind:     global_buffer
      - .offset:         8
        .size:           8
        .value_kind:     by_value
      - .actual_access:  read_only
        .address_space:  global
        .offset:         16
        .size:           8
        .value_kind:     global_buffer
      - .actual_access:  read_only
        .address_space:  global
        .offset:         24
        .size:           8
        .value_kind:     global_buffer
      - .offset:         32
        .size:           8
        .value_kind:     by_value
      - .actual_access:  read_only
        .address_space:  global
        .offset:         40
        .size:           8
        .value_kind:     global_buffer
      - .actual_access:  read_only
        .address_space:  global
        .offset:         48
        .size:           8
        .value_kind:     global_buffer
      - .offset:         56
        .size:           4
        .value_kind:     by_value
      - .actual_access:  read_only
        .address_space:  global
        .offset:         64
        .size:           8
        .value_kind:     global_buffer
      - .actual_access:  read_only
        .address_space:  global
        .offset:         72
        .size:           8
        .value_kind:     global_buffer
      - .address_space:  global
        .offset:         80
        .size:           8
        .value_kind:     global_buffer
    .group_segment_fixed_size: 0
    .kernarg_segment_align: 8
    .kernarg_segment_size: 88
    .language:       OpenCL C
    .language_version:
      - 2
      - 0
    .max_flat_workgroup_size: 52
    .name:           fft_rtc_fwd_len1352_factors_2_13_13_4_wgs_52_tpt_52_halfLds_sp_ip_CI_unitstride_sbrr_dirReg
    .private_segment_fixed_size: 0
    .sgpr_count:     34
    .sgpr_spill_count: 0
    .symbol:         fft_rtc_fwd_len1352_factors_2_13_13_4_wgs_52_tpt_52_halfLds_sp_ip_CI_unitstride_sbrr_dirReg.kd
    .uniform_work_group_size: 1
    .uses_dynamic_stack: false
    .vgpr_count:     129
    .vgpr_spill_count: 0
    .wavefront_size: 32
    .workgroup_processor_mode: 1
amdhsa.target:   amdgcn-amd-amdhsa--gfx1201
amdhsa.version:
  - 1
  - 2
...

	.end_amdgpu_metadata
